;; amdgpu-corpus repo=ROCm/rocSPARSE kind=compiled arch=gfx1100 opt=O3
	.text
	.amdgcn_target "amdgcn-amd-amdhsa--gfx1100"
	.amdhsa_code_object_version 6
	.section	.text._ZN9rocsparseL10abs_kernelILi256EfEEviPKT0_PS1_,"axG",@progbits,_ZN9rocsparseL10abs_kernelILi256EfEEviPKT0_PS1_,comdat
	.globl	_ZN9rocsparseL10abs_kernelILi256EfEEviPKT0_PS1_ ; -- Begin function _ZN9rocsparseL10abs_kernelILi256EfEEviPKT0_PS1_
	.p2align	8
	.type	_ZN9rocsparseL10abs_kernelILi256EfEEviPKT0_PS1_,@function
_ZN9rocsparseL10abs_kernelILi256EfEEviPKT0_PS1_: ; @_ZN9rocsparseL10abs_kernelILi256EfEEviPKT0_PS1_
; %bb.0:
	s_load_b32 s2, s[0:1], 0x0
	v_lshl_or_b32 v0, s15, 8, v0
	s_waitcnt lgkmcnt(0)
	s_delay_alu instid0(VALU_DEP_1)
	v_cmp_gt_i32_e32 vcc_lo, s2, v0
	s_and_saveexec_b32 s2, vcc_lo
	s_cbranch_execz .LBB0_2
; %bb.1:
	s_load_b128 s[0:3], s[0:1], 0x8
	v_ashrrev_i32_e32 v1, 31, v0
	s_delay_alu instid0(VALU_DEP_1) | instskip(SKIP_1) | instid1(VALU_DEP_1)
	v_lshlrev_b64 v[0:1], 2, v[0:1]
	s_waitcnt lgkmcnt(0)
	v_add_co_u32 v2, vcc_lo, s0, v0
	s_delay_alu instid0(VALU_DEP_2)
	v_add_co_ci_u32_e32 v3, vcc_lo, s1, v1, vcc_lo
	global_load_b32 v2, v[2:3], off
	s_waitcnt vmcnt(0)
	v_cmp_gt_f32_e32 vcc_lo, 0, v2
	v_cndmask_b32_e64 v2, v2, -v2, vcc_lo
	v_add_co_u32 v0, vcc_lo, s2, v0
	v_add_co_ci_u32_e32 v1, vcc_lo, s3, v1, vcc_lo
	global_store_b32 v[0:1], v2, off
.LBB0_2:
	s_nop 0
	s_sendmsg sendmsg(MSG_DEALLOC_VGPRS)
	s_endpgm
	.section	.rodata,"a",@progbits
	.p2align	6, 0x0
	.amdhsa_kernel _ZN9rocsparseL10abs_kernelILi256EfEEviPKT0_PS1_
		.amdhsa_group_segment_fixed_size 0
		.amdhsa_private_segment_fixed_size 0
		.amdhsa_kernarg_size 24
		.amdhsa_user_sgpr_count 15
		.amdhsa_user_sgpr_dispatch_ptr 0
		.amdhsa_user_sgpr_queue_ptr 0
		.amdhsa_user_sgpr_kernarg_segment_ptr 1
		.amdhsa_user_sgpr_dispatch_id 0
		.amdhsa_user_sgpr_private_segment_size 0
		.amdhsa_wavefront_size32 1
		.amdhsa_uses_dynamic_stack 0
		.amdhsa_enable_private_segment 0
		.amdhsa_system_sgpr_workgroup_id_x 1
		.amdhsa_system_sgpr_workgroup_id_y 0
		.amdhsa_system_sgpr_workgroup_id_z 0
		.amdhsa_system_sgpr_workgroup_info 0
		.amdhsa_system_vgpr_workitem_id 0
		.amdhsa_next_free_vgpr 4
		.amdhsa_next_free_sgpr 16
		.amdhsa_reserve_vcc 1
		.amdhsa_float_round_mode_32 0
		.amdhsa_float_round_mode_16_64 0
		.amdhsa_float_denorm_mode_32 3
		.amdhsa_float_denorm_mode_16_64 3
		.amdhsa_dx10_clamp 1
		.amdhsa_ieee_mode 1
		.amdhsa_fp16_overflow 0
		.amdhsa_workgroup_processor_mode 1
		.amdhsa_memory_ordered 1
		.amdhsa_forward_progress 0
		.amdhsa_shared_vgpr_count 0
		.amdhsa_exception_fp_ieee_invalid_op 0
		.amdhsa_exception_fp_denorm_src 0
		.amdhsa_exception_fp_ieee_div_zero 0
		.amdhsa_exception_fp_ieee_overflow 0
		.amdhsa_exception_fp_ieee_underflow 0
		.amdhsa_exception_fp_ieee_inexact 0
		.amdhsa_exception_int_div_zero 0
	.end_amdhsa_kernel
	.section	.text._ZN9rocsparseL10abs_kernelILi256EfEEviPKT0_PS1_,"axG",@progbits,_ZN9rocsparseL10abs_kernelILi256EfEEviPKT0_PS1_,comdat
.Lfunc_end0:
	.size	_ZN9rocsparseL10abs_kernelILi256EfEEviPKT0_PS1_, .Lfunc_end0-_ZN9rocsparseL10abs_kernelILi256EfEEviPKT0_PS1_
                                        ; -- End function
	.section	.AMDGPU.csdata,"",@progbits
; Kernel info:
; codeLenInByte = 136
; NumSgprs: 18
; NumVgprs: 4
; ScratchSize: 0
; MemoryBound: 0
; FloatMode: 240
; IeeeMode: 1
; LDSByteSize: 0 bytes/workgroup (compile time only)
; SGPRBlocks: 2
; VGPRBlocks: 0
; NumSGPRsForWavesPerEU: 18
; NumVGPRsForWavesPerEU: 4
; Occupancy: 16
; WaveLimiterHint : 0
; COMPUTE_PGM_RSRC2:SCRATCH_EN: 0
; COMPUTE_PGM_RSRC2:USER_SGPR: 15
; COMPUTE_PGM_RSRC2:TRAP_HANDLER: 0
; COMPUTE_PGM_RSRC2:TGID_X_EN: 1
; COMPUTE_PGM_RSRC2:TGID_Y_EN: 0
; COMPUTE_PGM_RSRC2:TGID_Z_EN: 0
; COMPUTE_PGM_RSRC2:TIDIG_COMP_CNT: 0
	.section	.text._ZN9rocsparseL10abs_kernelILi256EdEEviPKT0_PS1_,"axG",@progbits,_ZN9rocsparseL10abs_kernelILi256EdEEviPKT0_PS1_,comdat
	.globl	_ZN9rocsparseL10abs_kernelILi256EdEEviPKT0_PS1_ ; -- Begin function _ZN9rocsparseL10abs_kernelILi256EdEEviPKT0_PS1_
	.p2align	8
	.type	_ZN9rocsparseL10abs_kernelILi256EdEEviPKT0_PS1_,@function
_ZN9rocsparseL10abs_kernelILi256EdEEviPKT0_PS1_: ; @_ZN9rocsparseL10abs_kernelILi256EdEEviPKT0_PS1_
; %bb.0:
	s_load_b32 s2, s[0:1], 0x0
	v_lshl_or_b32 v0, s15, 8, v0
	s_waitcnt lgkmcnt(0)
	s_delay_alu instid0(VALU_DEP_1)
	v_cmp_gt_i32_e32 vcc_lo, s2, v0
	s_and_saveexec_b32 s2, vcc_lo
	s_cbranch_execz .LBB1_2
; %bb.1:
	s_load_b128 s[0:3], s[0:1], 0x8
	v_ashrrev_i32_e32 v1, 31, v0
	s_delay_alu instid0(VALU_DEP_1) | instskip(SKIP_1) | instid1(VALU_DEP_1)
	v_lshlrev_b64 v[0:1], 3, v[0:1]
	s_waitcnt lgkmcnt(0)
	v_add_co_u32 v2, vcc_lo, s0, v0
	s_delay_alu instid0(VALU_DEP_2) | instskip(SKIP_4) | instid1(VALU_DEP_1)
	v_add_co_ci_u32_e32 v3, vcc_lo, s1, v1, vcc_lo
	global_load_b64 v[2:3], v[2:3], off
	s_waitcnt vmcnt(0)
	v_cmp_gt_f64_e32 vcc_lo, 0, v[2:3]
	v_xor_b32_e32 v4, 0x80000000, v3
	v_dual_cndmask_b32 v3, v3, v4 :: v_dual_cndmask_b32 v2, v2, v2
	v_add_co_u32 v0, vcc_lo, s2, v0
	v_add_co_ci_u32_e32 v1, vcc_lo, s3, v1, vcc_lo
	global_store_b64 v[0:1], v[2:3], off
.LBB1_2:
	s_nop 0
	s_sendmsg sendmsg(MSG_DEALLOC_VGPRS)
	s_endpgm
	.section	.rodata,"a",@progbits
	.p2align	6, 0x0
	.amdhsa_kernel _ZN9rocsparseL10abs_kernelILi256EdEEviPKT0_PS1_
		.amdhsa_group_segment_fixed_size 0
		.amdhsa_private_segment_fixed_size 0
		.amdhsa_kernarg_size 24
		.amdhsa_user_sgpr_count 15
		.amdhsa_user_sgpr_dispatch_ptr 0
		.amdhsa_user_sgpr_queue_ptr 0
		.amdhsa_user_sgpr_kernarg_segment_ptr 1
		.amdhsa_user_sgpr_dispatch_id 0
		.amdhsa_user_sgpr_private_segment_size 0
		.amdhsa_wavefront_size32 1
		.amdhsa_uses_dynamic_stack 0
		.amdhsa_enable_private_segment 0
		.amdhsa_system_sgpr_workgroup_id_x 1
		.amdhsa_system_sgpr_workgroup_id_y 0
		.amdhsa_system_sgpr_workgroup_id_z 0
		.amdhsa_system_sgpr_workgroup_info 0
		.amdhsa_system_vgpr_workitem_id 0
		.amdhsa_next_free_vgpr 5
		.amdhsa_next_free_sgpr 16
		.amdhsa_reserve_vcc 1
		.amdhsa_float_round_mode_32 0
		.amdhsa_float_round_mode_16_64 0
		.amdhsa_float_denorm_mode_32 3
		.amdhsa_float_denorm_mode_16_64 3
		.amdhsa_dx10_clamp 1
		.amdhsa_ieee_mode 1
		.amdhsa_fp16_overflow 0
		.amdhsa_workgroup_processor_mode 1
		.amdhsa_memory_ordered 1
		.amdhsa_forward_progress 0
		.amdhsa_shared_vgpr_count 0
		.amdhsa_exception_fp_ieee_invalid_op 0
		.amdhsa_exception_fp_denorm_src 0
		.amdhsa_exception_fp_ieee_div_zero 0
		.amdhsa_exception_fp_ieee_overflow 0
		.amdhsa_exception_fp_ieee_underflow 0
		.amdhsa_exception_fp_ieee_inexact 0
		.amdhsa_exception_int_div_zero 0
	.end_amdhsa_kernel
	.section	.text._ZN9rocsparseL10abs_kernelILi256EdEEviPKT0_PS1_,"axG",@progbits,_ZN9rocsparseL10abs_kernelILi256EdEEviPKT0_PS1_,comdat
.Lfunc_end1:
	.size	_ZN9rocsparseL10abs_kernelILi256EdEEviPKT0_PS1_, .Lfunc_end1-_ZN9rocsparseL10abs_kernelILi256EdEEviPKT0_PS1_
                                        ; -- End function
	.section	.AMDGPU.csdata,"",@progbits
; Kernel info:
; codeLenInByte = 144
; NumSgprs: 18
; NumVgprs: 5
; ScratchSize: 0
; MemoryBound: 0
; FloatMode: 240
; IeeeMode: 1
; LDSByteSize: 0 bytes/workgroup (compile time only)
; SGPRBlocks: 2
; VGPRBlocks: 0
; NumSGPRsForWavesPerEU: 18
; NumVGPRsForWavesPerEU: 5
; Occupancy: 16
; WaveLimiterHint : 0
; COMPUTE_PGM_RSRC2:SCRATCH_EN: 0
; COMPUTE_PGM_RSRC2:USER_SGPR: 15
; COMPUTE_PGM_RSRC2:TRAP_HANDLER: 0
; COMPUTE_PGM_RSRC2:TGID_X_EN: 1
; COMPUTE_PGM_RSRC2:TGID_Y_EN: 0
; COMPUTE_PGM_RSRC2:TGID_Z_EN: 0
; COMPUTE_PGM_RSRC2:TIDIG_COMP_CNT: 0
	.section	.text._ZN9rocsparseL23csr2csr_compress_kernelILi1024ELi512ELi2ELi32EfEEvii21rocsparse_index_base_PKT3_PKiS6_iS1_PS2_S6_PiNS_24const_host_device_scalarIS2_EEb,"axG",@progbits,_ZN9rocsparseL23csr2csr_compress_kernelILi1024ELi512ELi2ELi32EfEEvii21rocsparse_index_base_PKT3_PKiS6_iS1_PS2_S6_PiNS_24const_host_device_scalarIS2_EEb,comdat
	.globl	_ZN9rocsparseL23csr2csr_compress_kernelILi1024ELi512ELi2ELi32EfEEvii21rocsparse_index_base_PKT3_PKiS6_iS1_PS2_S6_PiNS_24const_host_device_scalarIS2_EEb ; -- Begin function _ZN9rocsparseL23csr2csr_compress_kernelILi1024ELi512ELi2ELi32EfEEvii21rocsparse_index_base_PKT3_PKiS6_iS1_PS2_S6_PiNS_24const_host_device_scalarIS2_EEb
	.p2align	8
	.type	_ZN9rocsparseL23csr2csr_compress_kernelILi1024ELi512ELi2ELi32EfEEvii21rocsparse_index_base_PKT3_PKiS6_iS1_PS2_S6_PiNS_24const_host_device_scalarIS2_EEb,@function
_ZN9rocsparseL23csr2csr_compress_kernelILi1024ELi512ELi2ELi32EfEEvii21rocsparse_index_base_PKT3_PKiS6_iS1_PS2_S6_PiNS_24const_host_device_scalarIS2_EEb: ; @_ZN9rocsparseL23csr2csr_compress_kernelILi1024ELi512ELi2ELi32EfEEvii21rocsparse_index_base_PKT3_PKiS6_iS1_PS2_S6_PiNS_24const_host_device_scalarIS2_EEb
; %bb.0:
	s_clause 0x1
	s_load_b32 s4, s[0:1], 0x50
	s_load_b64 s[2:3], s[0:1], 0x48
	s_waitcnt lgkmcnt(0)
	s_bitcmp1_b32 s4, 0
	s_cselect_b32 s4, -1, 0
	s_delay_alu instid0(SALU_CYCLE_1)
	s_and_b32 vcc_lo, exec_lo, s4
	s_cbranch_vccnz .LBB2_2
; %bb.1:
	s_load_b32 s2, s[2:3], 0x0
.LBB2_2:
	s_load_b32 s3, s[0:1], 0x0
	v_lshrrev_b32_e32 v1, 1, v0
	s_delay_alu instid0(VALU_DEP_1) | instskip(SKIP_1) | instid1(VALU_DEP_1)
	v_lshl_or_b32 v1, s15, 9, v1
	s_waitcnt lgkmcnt(0)
	v_cmp_gt_i32_e32 vcc_lo, s3, v1
	s_and_saveexec_b32 s3, vcc_lo
	s_cbranch_execz .LBB2_8
; %bb.3:
	s_clause 0x1
	s_load_b64 s[4:5], s[0:1], 0x18
	s_load_b32 s3, s[0:1], 0x8
	v_ashrrev_i32_e32 v2, 31, v1
	s_delay_alu instid0(VALU_DEP_1) | instskip(SKIP_1) | instid1(VALU_DEP_1)
	v_lshlrev_b64 v[2:3], 2, v[1:2]
	s_waitcnt lgkmcnt(0)
	v_add_co_u32 v4, vcc_lo, s4, v2
	s_delay_alu instid0(VALU_DEP_2) | instskip(SKIP_2) | instid1(VALU_DEP_1)
	v_add_co_ci_u32_e32 v5, vcc_lo, s5, v3, vcc_lo
	global_load_b64 v[5:6], v[4:5], off
	v_and_b32_e32 v4, 1, v0
	v_subrev_nc_u32_e32 v1, s3, v4
	s_waitcnt vmcnt(0)
	v_subrev_nc_u32_e32 v6, s3, v6
	s_delay_alu instid0(VALU_DEP_2) | instskip(NEXT) | instid1(VALU_DEP_1)
	v_add_nc_u32_e32 v1, v5, v1
	v_cmp_lt_i32_e32 vcc_lo, v1, v6
	s_and_b32 exec_lo, exec_lo, vcc_lo
	s_cbranch_execz .LBB2_8
; %bb.4:
	s_clause 0x1
	s_load_b128 s[8:11], s[0:1], 0x30
	s_load_b64 s[12:13], s[0:1], 0x40
	v_and_b32_e32 v7, 30, v0
	s_waitcnt lgkmcnt(0)
	v_add_co_u32 v2, vcc_lo, s10, v2
	v_add_co_ci_u32_e32 v3, vcc_lo, s11, v3, vcc_lo
	global_load_b32 v5, v[2:3], off
	s_clause 0x2
	s_load_b32 s10, s[0:1], 0x2c
	s_load_b64 s[4:5], s[0:1], 0x10
	s_load_b64 s[6:7], s[0:1], 0x20
	v_xor_b32_e32 v2, 63, v4
	v_mbcnt_lo_u32_b32 v4, -1, 0
	s_mov_b32 s1, 0
	s_delay_alu instid0(VALU_DEP_2) | instskip(NEXT) | instid1(VALU_DEP_2)
	v_lshrrev_b64 v[2:3], v2, -1
	v_lshl_or_b32 v0, v4, 2, 4
	s_delay_alu instid0(VALU_DEP_2)
	v_lshlrev_b64 v[3:4], v7, v[2:3]
	s_waitcnt lgkmcnt(0)
	s_sub_i32 s3, s10, s3
	s_add_u32 s8, s8, -4
	s_addc_u32 s9, s9, -1
	s_waitcnt vmcnt(0)
	v_subrev_nc_u32_e32 v7, s10, v5
	s_add_u32 s10, s12, -4
	s_addc_u32 s11, s13, -1
	s_branch .LBB2_6
.LBB2_5:                                ;   in Loop: Header=BB2_6 Depth=1
	s_or_b32 exec_lo, exec_lo, s0
	ds_bpermute_b32 v2, v0, v8
	v_add_nc_u32_e32 v1, 2, v1
	s_delay_alu instid0(VALU_DEP_1)
	v_cmp_ge_i32_e32 vcc_lo, v1, v6
	s_or_b32 s1, vcc_lo, s1
	s_waitcnt lgkmcnt(0)
	v_add_nc_u32_e32 v7, v2, v7
	s_and_not1_b32 exec_lo, exec_lo, s1
	s_cbranch_execz .LBB2_8
.LBB2_6:                                ; =>This Inner Loop Header: Depth=1
	v_ashrrev_i32_e32 v2, 31, v1
	s_delay_alu instid0(VALU_DEP_1) | instskip(NEXT) | instid1(VALU_DEP_1)
	v_lshlrev_b64 v[4:5], 2, v[1:2]
	v_add_co_u32 v8, vcc_lo, s4, v4
	s_delay_alu instid0(VALU_DEP_2) | instskip(SKIP_4) | instid1(VALU_DEP_1)
	v_add_co_ci_u32_e32 v9, vcc_lo, s5, v5, vcc_lo
	global_load_b32 v2, v[8:9], off
	s_waitcnt vmcnt(0)
	v_cmp_gt_f32_e32 vcc_lo, 0, v2
	v_cndmask_b32_e64 v8, v2, -v2, vcc_lo
	v_cmp_lt_f32_e32 vcc_lo, s2, v8
	v_cmp_lt_f32_e64 s0, 0x800000, v8
	s_delay_alu instid0(VALU_DEP_1) | instskip(NEXT) | instid1(SALU_CYCLE_1)
	s_and_b32 s12, vcc_lo, s0
	v_cndmask_b32_e64 v8, 0, 1, s12
	s_delay_alu instid0(VALU_DEP_1) | instskip(SKIP_1) | instid1(VALU_DEP_1)
	v_cmp_ne_u32_e32 vcc_lo, 0, v8
	v_and_b32_e32 v8, vcc_lo, v3
	v_bcnt_u32_b32 v8, v8, 0
	s_and_saveexec_b32 s0, s12
	s_cbranch_execz .LBB2_5
; %bb.7:                                ;   in Loop: Header=BB2_6 Depth=1
	v_add_co_u32 v4, vcc_lo, s6, v4
	v_add_co_ci_u32_e32 v5, vcc_lo, s7, v5, vcc_lo
	global_load_b32 v11, v[4:5], off
	v_ashrrev_i32_e32 v5, 31, v7
	v_add_co_u32 v4, vcc_lo, v7, v8
	s_delay_alu instid0(VALU_DEP_2) | instskip(NEXT) | instid1(VALU_DEP_1)
	v_add_co_ci_u32_e32 v5, vcc_lo, 0, v5, vcc_lo
	v_lshlrev_b64 v[4:5], 2, v[4:5]
	s_delay_alu instid0(VALU_DEP_1) | instskip(NEXT) | instid1(VALU_DEP_2)
	v_add_co_u32 v9, vcc_lo, s8, v4
	v_add_co_ci_u32_e32 v10, vcc_lo, s9, v5, vcc_lo
	v_add_co_u32 v4, vcc_lo, s10, v4
	v_add_co_ci_u32_e32 v5, vcc_lo, s11, v5, vcc_lo
	s_waitcnt vmcnt(0)
	v_add_nc_u32_e32 v11, s3, v11
	global_store_b32 v[9:10], v2, off
	global_store_b32 v[4:5], v11, off
	s_branch .LBB2_5
.LBB2_8:
	s_nop 0
	s_sendmsg sendmsg(MSG_DEALLOC_VGPRS)
	s_endpgm
	.section	.rodata,"a",@progbits
	.p2align	6, 0x0
	.amdhsa_kernel _ZN9rocsparseL23csr2csr_compress_kernelILi1024ELi512ELi2ELi32EfEEvii21rocsparse_index_base_PKT3_PKiS6_iS1_PS2_S6_PiNS_24const_host_device_scalarIS2_EEb
		.amdhsa_group_segment_fixed_size 0
		.amdhsa_private_segment_fixed_size 0
		.amdhsa_kernarg_size 84
		.amdhsa_user_sgpr_count 15
		.amdhsa_user_sgpr_dispatch_ptr 0
		.amdhsa_user_sgpr_queue_ptr 0
		.amdhsa_user_sgpr_kernarg_segment_ptr 1
		.amdhsa_user_sgpr_dispatch_id 0
		.amdhsa_user_sgpr_private_segment_size 0
		.amdhsa_wavefront_size32 1
		.amdhsa_uses_dynamic_stack 0
		.amdhsa_enable_private_segment 0
		.amdhsa_system_sgpr_workgroup_id_x 1
		.amdhsa_system_sgpr_workgroup_id_y 0
		.amdhsa_system_sgpr_workgroup_id_z 0
		.amdhsa_system_sgpr_workgroup_info 0
		.amdhsa_system_vgpr_workitem_id 0
		.amdhsa_next_free_vgpr 12
		.amdhsa_next_free_sgpr 16
		.amdhsa_reserve_vcc 1
		.amdhsa_float_round_mode_32 0
		.amdhsa_float_round_mode_16_64 0
		.amdhsa_float_denorm_mode_32 3
		.amdhsa_float_denorm_mode_16_64 3
		.amdhsa_dx10_clamp 1
		.amdhsa_ieee_mode 1
		.amdhsa_fp16_overflow 0
		.amdhsa_workgroup_processor_mode 1
		.amdhsa_memory_ordered 1
		.amdhsa_forward_progress 0
		.amdhsa_shared_vgpr_count 0
		.amdhsa_exception_fp_ieee_invalid_op 0
		.amdhsa_exception_fp_denorm_src 0
		.amdhsa_exception_fp_ieee_div_zero 0
		.amdhsa_exception_fp_ieee_overflow 0
		.amdhsa_exception_fp_ieee_underflow 0
		.amdhsa_exception_fp_ieee_inexact 0
		.amdhsa_exception_int_div_zero 0
	.end_amdhsa_kernel
	.section	.text._ZN9rocsparseL23csr2csr_compress_kernelILi1024ELi512ELi2ELi32EfEEvii21rocsparse_index_base_PKT3_PKiS6_iS1_PS2_S6_PiNS_24const_host_device_scalarIS2_EEb,"axG",@progbits,_ZN9rocsparseL23csr2csr_compress_kernelILi1024ELi512ELi2ELi32EfEEvii21rocsparse_index_base_PKT3_PKiS6_iS1_PS2_S6_PiNS_24const_host_device_scalarIS2_EEb,comdat
.Lfunc_end2:
	.size	_ZN9rocsparseL23csr2csr_compress_kernelILi1024ELi512ELi2ELi32EfEEvii21rocsparse_index_base_PKT3_PKiS6_iS1_PS2_S6_PiNS_24const_host_device_scalarIS2_EEb, .Lfunc_end2-_ZN9rocsparseL23csr2csr_compress_kernelILi1024ELi512ELi2ELi32EfEEvii21rocsparse_index_base_PKT3_PKiS6_iS1_PS2_S6_PiNS_24const_host_device_scalarIS2_EEb
                                        ; -- End function
	.section	.AMDGPU.csdata,"",@progbits
; Kernel info:
; codeLenInByte = 628
; NumSgprs: 18
; NumVgprs: 12
; ScratchSize: 0
; MemoryBound: 0
; FloatMode: 240
; IeeeMode: 1
; LDSByteSize: 0 bytes/workgroup (compile time only)
; SGPRBlocks: 2
; VGPRBlocks: 1
; NumSGPRsForWavesPerEU: 18
; NumVGPRsForWavesPerEU: 12
; Occupancy: 16
; WaveLimiterHint : 0
; COMPUTE_PGM_RSRC2:SCRATCH_EN: 0
; COMPUTE_PGM_RSRC2:USER_SGPR: 15
; COMPUTE_PGM_RSRC2:TRAP_HANDLER: 0
; COMPUTE_PGM_RSRC2:TGID_X_EN: 1
; COMPUTE_PGM_RSRC2:TGID_Y_EN: 0
; COMPUTE_PGM_RSRC2:TGID_Z_EN: 0
; COMPUTE_PGM_RSRC2:TIDIG_COMP_CNT: 0
	.section	.text._ZN9rocsparseL23csr2csr_compress_kernelILi1024ELi256ELi4ELi32EfEEvii21rocsparse_index_base_PKT3_PKiS6_iS1_PS2_S6_PiNS_24const_host_device_scalarIS2_EEb,"axG",@progbits,_ZN9rocsparseL23csr2csr_compress_kernelILi1024ELi256ELi4ELi32EfEEvii21rocsparse_index_base_PKT3_PKiS6_iS1_PS2_S6_PiNS_24const_host_device_scalarIS2_EEb,comdat
	.globl	_ZN9rocsparseL23csr2csr_compress_kernelILi1024ELi256ELi4ELi32EfEEvii21rocsparse_index_base_PKT3_PKiS6_iS1_PS2_S6_PiNS_24const_host_device_scalarIS2_EEb ; -- Begin function _ZN9rocsparseL23csr2csr_compress_kernelILi1024ELi256ELi4ELi32EfEEvii21rocsparse_index_base_PKT3_PKiS6_iS1_PS2_S6_PiNS_24const_host_device_scalarIS2_EEb
	.p2align	8
	.type	_ZN9rocsparseL23csr2csr_compress_kernelILi1024ELi256ELi4ELi32EfEEvii21rocsparse_index_base_PKT3_PKiS6_iS1_PS2_S6_PiNS_24const_host_device_scalarIS2_EEb,@function
_ZN9rocsparseL23csr2csr_compress_kernelILi1024ELi256ELi4ELi32EfEEvii21rocsparse_index_base_PKT3_PKiS6_iS1_PS2_S6_PiNS_24const_host_device_scalarIS2_EEb: ; @_ZN9rocsparseL23csr2csr_compress_kernelILi1024ELi256ELi4ELi32EfEEvii21rocsparse_index_base_PKT3_PKiS6_iS1_PS2_S6_PiNS_24const_host_device_scalarIS2_EEb
; %bb.0:
	s_clause 0x1
	s_load_b32 s4, s[0:1], 0x50
	s_load_b64 s[2:3], s[0:1], 0x48
	s_waitcnt lgkmcnt(0)
	s_bitcmp1_b32 s4, 0
	s_cselect_b32 s4, -1, 0
	s_delay_alu instid0(SALU_CYCLE_1)
	s_and_b32 vcc_lo, exec_lo, s4
	s_cbranch_vccnz .LBB3_2
; %bb.1:
	s_load_b32 s2, s[2:3], 0x0
.LBB3_2:
	s_load_b32 s3, s[0:1], 0x0
	v_lshrrev_b32_e32 v1, 2, v0
	s_delay_alu instid0(VALU_DEP_1) | instskip(SKIP_1) | instid1(VALU_DEP_1)
	v_lshl_or_b32 v1, s15, 8, v1
	s_waitcnt lgkmcnt(0)
	v_cmp_gt_i32_e32 vcc_lo, s3, v1
	s_and_saveexec_b32 s3, vcc_lo
	s_cbranch_execz .LBB3_8
; %bb.3:
	s_clause 0x1
	s_load_b64 s[4:5], s[0:1], 0x18
	s_load_b32 s3, s[0:1], 0x8
	v_ashrrev_i32_e32 v2, 31, v1
	s_delay_alu instid0(VALU_DEP_1) | instskip(SKIP_1) | instid1(VALU_DEP_1)
	v_lshlrev_b64 v[2:3], 2, v[1:2]
	s_waitcnt lgkmcnt(0)
	v_add_co_u32 v4, vcc_lo, s4, v2
	s_delay_alu instid0(VALU_DEP_2) | instskip(SKIP_2) | instid1(VALU_DEP_1)
	v_add_co_ci_u32_e32 v5, vcc_lo, s5, v3, vcc_lo
	global_load_b64 v[5:6], v[4:5], off
	v_and_b32_e32 v4, 3, v0
	v_subrev_nc_u32_e32 v1, s3, v4
	s_waitcnt vmcnt(0)
	v_subrev_nc_u32_e32 v6, s3, v6
	s_delay_alu instid0(VALU_DEP_2) | instskip(NEXT) | instid1(VALU_DEP_1)
	v_add_nc_u32_e32 v1, v5, v1
	v_cmp_lt_i32_e32 vcc_lo, v1, v6
	s_and_b32 exec_lo, exec_lo, vcc_lo
	s_cbranch_execz .LBB3_8
; %bb.4:
	s_clause 0x1
	s_load_b128 s[8:11], s[0:1], 0x30
	s_load_b64 s[12:13], s[0:1], 0x40
	v_and_b32_e32 v7, 28, v0
	s_waitcnt lgkmcnt(0)
	v_add_co_u32 v2, vcc_lo, s10, v2
	v_add_co_ci_u32_e32 v3, vcc_lo, s11, v3, vcc_lo
	global_load_b32 v5, v[2:3], off
	s_clause 0x2
	s_load_b32 s10, s[0:1], 0x2c
	s_load_b64 s[4:5], s[0:1], 0x10
	s_load_b64 s[6:7], s[0:1], 0x20
	v_xor_b32_e32 v2, 63, v4
	v_mbcnt_lo_u32_b32 v4, -1, 0
	s_mov_b32 s1, 0
	s_delay_alu instid0(VALU_DEP_2) | instskip(NEXT) | instid1(VALU_DEP_2)
	v_lshrrev_b64 v[2:3], v2, -1
	v_lshl_or_b32 v0, v4, 2, 12
	s_delay_alu instid0(VALU_DEP_2)
	v_lshlrev_b64 v[3:4], v7, v[2:3]
	s_waitcnt lgkmcnt(0)
	s_sub_i32 s3, s10, s3
	s_add_u32 s8, s8, -4
	s_addc_u32 s9, s9, -1
	s_waitcnt vmcnt(0)
	v_subrev_nc_u32_e32 v7, s10, v5
	s_add_u32 s10, s12, -4
	s_addc_u32 s11, s13, -1
	s_branch .LBB3_6
.LBB3_5:                                ;   in Loop: Header=BB3_6 Depth=1
	s_or_b32 exec_lo, exec_lo, s0
	ds_bpermute_b32 v2, v0, v8
	v_add_nc_u32_e32 v1, 4, v1
	s_delay_alu instid0(VALU_DEP_1)
	v_cmp_ge_i32_e32 vcc_lo, v1, v6
	s_or_b32 s1, vcc_lo, s1
	s_waitcnt lgkmcnt(0)
	v_add_nc_u32_e32 v7, v2, v7
	s_and_not1_b32 exec_lo, exec_lo, s1
	s_cbranch_execz .LBB3_8
.LBB3_6:                                ; =>This Inner Loop Header: Depth=1
	v_ashrrev_i32_e32 v2, 31, v1
	s_delay_alu instid0(VALU_DEP_1) | instskip(NEXT) | instid1(VALU_DEP_1)
	v_lshlrev_b64 v[4:5], 2, v[1:2]
	v_add_co_u32 v8, vcc_lo, s4, v4
	s_delay_alu instid0(VALU_DEP_2) | instskip(SKIP_4) | instid1(VALU_DEP_1)
	v_add_co_ci_u32_e32 v9, vcc_lo, s5, v5, vcc_lo
	global_load_b32 v2, v[8:9], off
	s_waitcnt vmcnt(0)
	v_cmp_gt_f32_e32 vcc_lo, 0, v2
	v_cndmask_b32_e64 v8, v2, -v2, vcc_lo
	v_cmp_lt_f32_e32 vcc_lo, s2, v8
	v_cmp_lt_f32_e64 s0, 0x800000, v8
	s_delay_alu instid0(VALU_DEP_1) | instskip(NEXT) | instid1(SALU_CYCLE_1)
	s_and_b32 s12, vcc_lo, s0
	v_cndmask_b32_e64 v8, 0, 1, s12
	s_delay_alu instid0(VALU_DEP_1) | instskip(SKIP_1) | instid1(VALU_DEP_1)
	v_cmp_ne_u32_e32 vcc_lo, 0, v8
	v_and_b32_e32 v8, vcc_lo, v3
	v_bcnt_u32_b32 v8, v8, 0
	s_and_saveexec_b32 s0, s12
	s_cbranch_execz .LBB3_5
; %bb.7:                                ;   in Loop: Header=BB3_6 Depth=1
	v_add_co_u32 v4, vcc_lo, s6, v4
	v_add_co_ci_u32_e32 v5, vcc_lo, s7, v5, vcc_lo
	global_load_b32 v11, v[4:5], off
	v_ashrrev_i32_e32 v5, 31, v7
	v_add_co_u32 v4, vcc_lo, v7, v8
	s_delay_alu instid0(VALU_DEP_2) | instskip(NEXT) | instid1(VALU_DEP_1)
	v_add_co_ci_u32_e32 v5, vcc_lo, 0, v5, vcc_lo
	v_lshlrev_b64 v[4:5], 2, v[4:5]
	s_delay_alu instid0(VALU_DEP_1) | instskip(NEXT) | instid1(VALU_DEP_2)
	v_add_co_u32 v9, vcc_lo, s8, v4
	v_add_co_ci_u32_e32 v10, vcc_lo, s9, v5, vcc_lo
	v_add_co_u32 v4, vcc_lo, s10, v4
	v_add_co_ci_u32_e32 v5, vcc_lo, s11, v5, vcc_lo
	s_waitcnt vmcnt(0)
	v_add_nc_u32_e32 v11, s3, v11
	global_store_b32 v[9:10], v2, off
	global_store_b32 v[4:5], v11, off
	s_branch .LBB3_5
.LBB3_8:
	s_nop 0
	s_sendmsg sendmsg(MSG_DEALLOC_VGPRS)
	s_endpgm
	.section	.rodata,"a",@progbits
	.p2align	6, 0x0
	.amdhsa_kernel _ZN9rocsparseL23csr2csr_compress_kernelILi1024ELi256ELi4ELi32EfEEvii21rocsparse_index_base_PKT3_PKiS6_iS1_PS2_S6_PiNS_24const_host_device_scalarIS2_EEb
		.amdhsa_group_segment_fixed_size 0
		.amdhsa_private_segment_fixed_size 0
		.amdhsa_kernarg_size 84
		.amdhsa_user_sgpr_count 15
		.amdhsa_user_sgpr_dispatch_ptr 0
		.amdhsa_user_sgpr_queue_ptr 0
		.amdhsa_user_sgpr_kernarg_segment_ptr 1
		.amdhsa_user_sgpr_dispatch_id 0
		.amdhsa_user_sgpr_private_segment_size 0
		.amdhsa_wavefront_size32 1
		.amdhsa_uses_dynamic_stack 0
		.amdhsa_enable_private_segment 0
		.amdhsa_system_sgpr_workgroup_id_x 1
		.amdhsa_system_sgpr_workgroup_id_y 0
		.amdhsa_system_sgpr_workgroup_id_z 0
		.amdhsa_system_sgpr_workgroup_info 0
		.amdhsa_system_vgpr_workitem_id 0
		.amdhsa_next_free_vgpr 12
		.amdhsa_next_free_sgpr 16
		.amdhsa_reserve_vcc 1
		.amdhsa_float_round_mode_32 0
		.amdhsa_float_round_mode_16_64 0
		.amdhsa_float_denorm_mode_32 3
		.amdhsa_float_denorm_mode_16_64 3
		.amdhsa_dx10_clamp 1
		.amdhsa_ieee_mode 1
		.amdhsa_fp16_overflow 0
		.amdhsa_workgroup_processor_mode 1
		.amdhsa_memory_ordered 1
		.amdhsa_forward_progress 0
		.amdhsa_shared_vgpr_count 0
		.amdhsa_exception_fp_ieee_invalid_op 0
		.amdhsa_exception_fp_denorm_src 0
		.amdhsa_exception_fp_ieee_div_zero 0
		.amdhsa_exception_fp_ieee_overflow 0
		.amdhsa_exception_fp_ieee_underflow 0
		.amdhsa_exception_fp_ieee_inexact 0
		.amdhsa_exception_int_div_zero 0
	.end_amdhsa_kernel
	.section	.text._ZN9rocsparseL23csr2csr_compress_kernelILi1024ELi256ELi4ELi32EfEEvii21rocsparse_index_base_PKT3_PKiS6_iS1_PS2_S6_PiNS_24const_host_device_scalarIS2_EEb,"axG",@progbits,_ZN9rocsparseL23csr2csr_compress_kernelILi1024ELi256ELi4ELi32EfEEvii21rocsparse_index_base_PKT3_PKiS6_iS1_PS2_S6_PiNS_24const_host_device_scalarIS2_EEb,comdat
.Lfunc_end3:
	.size	_ZN9rocsparseL23csr2csr_compress_kernelILi1024ELi256ELi4ELi32EfEEvii21rocsparse_index_base_PKT3_PKiS6_iS1_PS2_S6_PiNS_24const_host_device_scalarIS2_EEb, .Lfunc_end3-_ZN9rocsparseL23csr2csr_compress_kernelILi1024ELi256ELi4ELi32EfEEvii21rocsparse_index_base_PKT3_PKiS6_iS1_PS2_S6_PiNS_24const_host_device_scalarIS2_EEb
                                        ; -- End function
	.section	.AMDGPU.csdata,"",@progbits
; Kernel info:
; codeLenInByte = 628
; NumSgprs: 18
; NumVgprs: 12
; ScratchSize: 0
; MemoryBound: 0
; FloatMode: 240
; IeeeMode: 1
; LDSByteSize: 0 bytes/workgroup (compile time only)
; SGPRBlocks: 2
; VGPRBlocks: 1
; NumSGPRsForWavesPerEU: 18
; NumVGPRsForWavesPerEU: 12
; Occupancy: 16
; WaveLimiterHint : 0
; COMPUTE_PGM_RSRC2:SCRATCH_EN: 0
; COMPUTE_PGM_RSRC2:USER_SGPR: 15
; COMPUTE_PGM_RSRC2:TRAP_HANDLER: 0
; COMPUTE_PGM_RSRC2:TGID_X_EN: 1
; COMPUTE_PGM_RSRC2:TGID_Y_EN: 0
; COMPUTE_PGM_RSRC2:TGID_Z_EN: 0
; COMPUTE_PGM_RSRC2:TIDIG_COMP_CNT: 0
	.section	.text._ZN9rocsparseL23csr2csr_compress_kernelILi1024ELi128ELi8ELi32EfEEvii21rocsparse_index_base_PKT3_PKiS6_iS1_PS2_S6_PiNS_24const_host_device_scalarIS2_EEb,"axG",@progbits,_ZN9rocsparseL23csr2csr_compress_kernelILi1024ELi128ELi8ELi32EfEEvii21rocsparse_index_base_PKT3_PKiS6_iS1_PS2_S6_PiNS_24const_host_device_scalarIS2_EEb,comdat
	.globl	_ZN9rocsparseL23csr2csr_compress_kernelILi1024ELi128ELi8ELi32EfEEvii21rocsparse_index_base_PKT3_PKiS6_iS1_PS2_S6_PiNS_24const_host_device_scalarIS2_EEb ; -- Begin function _ZN9rocsparseL23csr2csr_compress_kernelILi1024ELi128ELi8ELi32EfEEvii21rocsparse_index_base_PKT3_PKiS6_iS1_PS2_S6_PiNS_24const_host_device_scalarIS2_EEb
	.p2align	8
	.type	_ZN9rocsparseL23csr2csr_compress_kernelILi1024ELi128ELi8ELi32EfEEvii21rocsparse_index_base_PKT3_PKiS6_iS1_PS2_S6_PiNS_24const_host_device_scalarIS2_EEb,@function
_ZN9rocsparseL23csr2csr_compress_kernelILi1024ELi128ELi8ELi32EfEEvii21rocsparse_index_base_PKT3_PKiS6_iS1_PS2_S6_PiNS_24const_host_device_scalarIS2_EEb: ; @_ZN9rocsparseL23csr2csr_compress_kernelILi1024ELi128ELi8ELi32EfEEvii21rocsparse_index_base_PKT3_PKiS6_iS1_PS2_S6_PiNS_24const_host_device_scalarIS2_EEb
; %bb.0:
	s_clause 0x1
	s_load_b32 s4, s[0:1], 0x50
	s_load_b64 s[2:3], s[0:1], 0x48
	s_waitcnt lgkmcnt(0)
	s_bitcmp1_b32 s4, 0
	s_cselect_b32 s4, -1, 0
	s_delay_alu instid0(SALU_CYCLE_1)
	s_and_b32 vcc_lo, exec_lo, s4
	s_cbranch_vccnz .LBB4_2
; %bb.1:
	s_load_b32 s2, s[2:3], 0x0
.LBB4_2:
	s_load_b32 s3, s[0:1], 0x0
	v_lshrrev_b32_e32 v1, 3, v0
	s_delay_alu instid0(VALU_DEP_1) | instskip(SKIP_1) | instid1(VALU_DEP_1)
	v_lshl_or_b32 v1, s15, 7, v1
	s_waitcnt lgkmcnt(0)
	v_cmp_gt_i32_e32 vcc_lo, s3, v1
	s_and_saveexec_b32 s3, vcc_lo
	s_cbranch_execz .LBB4_8
; %bb.3:
	s_clause 0x1
	s_load_b64 s[4:5], s[0:1], 0x18
	s_load_b32 s3, s[0:1], 0x8
	v_ashrrev_i32_e32 v2, 31, v1
	s_delay_alu instid0(VALU_DEP_1) | instskip(SKIP_1) | instid1(VALU_DEP_1)
	v_lshlrev_b64 v[2:3], 2, v[1:2]
	s_waitcnt lgkmcnt(0)
	v_add_co_u32 v4, vcc_lo, s4, v2
	s_delay_alu instid0(VALU_DEP_2) | instskip(SKIP_2) | instid1(VALU_DEP_1)
	v_add_co_ci_u32_e32 v5, vcc_lo, s5, v3, vcc_lo
	global_load_b64 v[5:6], v[4:5], off
	v_and_b32_e32 v4, 7, v0
	v_subrev_nc_u32_e32 v1, s3, v4
	s_waitcnt vmcnt(0)
	v_subrev_nc_u32_e32 v6, s3, v6
	s_delay_alu instid0(VALU_DEP_2) | instskip(NEXT) | instid1(VALU_DEP_1)
	v_add_nc_u32_e32 v1, v5, v1
	v_cmp_lt_i32_e32 vcc_lo, v1, v6
	s_and_b32 exec_lo, exec_lo, vcc_lo
	s_cbranch_execz .LBB4_8
; %bb.4:
	s_clause 0x1
	s_load_b128 s[8:11], s[0:1], 0x30
	s_load_b64 s[12:13], s[0:1], 0x40
	v_and_b32_e32 v7, 24, v0
	s_waitcnt lgkmcnt(0)
	v_add_co_u32 v2, vcc_lo, s10, v2
	v_add_co_ci_u32_e32 v3, vcc_lo, s11, v3, vcc_lo
	global_load_b32 v5, v[2:3], off
	s_clause 0x2
	s_load_b32 s10, s[0:1], 0x2c
	s_load_b64 s[4:5], s[0:1], 0x10
	s_load_b64 s[6:7], s[0:1], 0x20
	v_xor_b32_e32 v2, 63, v4
	v_mbcnt_lo_u32_b32 v4, -1, 0
	s_mov_b32 s1, 0
	s_delay_alu instid0(VALU_DEP_2) | instskip(NEXT) | instid1(VALU_DEP_2)
	v_lshrrev_b64 v[2:3], v2, -1
	v_lshl_or_b32 v0, v4, 2, 28
	s_delay_alu instid0(VALU_DEP_2)
	v_lshlrev_b64 v[3:4], v7, v[2:3]
	s_waitcnt lgkmcnt(0)
	s_sub_i32 s3, s10, s3
	s_add_u32 s8, s8, -4
	s_addc_u32 s9, s9, -1
	s_waitcnt vmcnt(0)
	v_subrev_nc_u32_e32 v7, s10, v5
	s_add_u32 s10, s12, -4
	s_addc_u32 s11, s13, -1
	s_branch .LBB4_6
.LBB4_5:                                ;   in Loop: Header=BB4_6 Depth=1
	s_or_b32 exec_lo, exec_lo, s0
	ds_bpermute_b32 v2, v0, v8
	v_add_nc_u32_e32 v1, 8, v1
	s_delay_alu instid0(VALU_DEP_1)
	v_cmp_ge_i32_e32 vcc_lo, v1, v6
	s_or_b32 s1, vcc_lo, s1
	s_waitcnt lgkmcnt(0)
	v_add_nc_u32_e32 v7, v2, v7
	s_and_not1_b32 exec_lo, exec_lo, s1
	s_cbranch_execz .LBB4_8
.LBB4_6:                                ; =>This Inner Loop Header: Depth=1
	v_ashrrev_i32_e32 v2, 31, v1
	s_delay_alu instid0(VALU_DEP_1) | instskip(NEXT) | instid1(VALU_DEP_1)
	v_lshlrev_b64 v[4:5], 2, v[1:2]
	v_add_co_u32 v8, vcc_lo, s4, v4
	s_delay_alu instid0(VALU_DEP_2) | instskip(SKIP_4) | instid1(VALU_DEP_1)
	v_add_co_ci_u32_e32 v9, vcc_lo, s5, v5, vcc_lo
	global_load_b32 v2, v[8:9], off
	s_waitcnt vmcnt(0)
	v_cmp_gt_f32_e32 vcc_lo, 0, v2
	v_cndmask_b32_e64 v8, v2, -v2, vcc_lo
	v_cmp_lt_f32_e32 vcc_lo, s2, v8
	v_cmp_lt_f32_e64 s0, 0x800000, v8
	s_delay_alu instid0(VALU_DEP_1) | instskip(NEXT) | instid1(SALU_CYCLE_1)
	s_and_b32 s12, vcc_lo, s0
	v_cndmask_b32_e64 v8, 0, 1, s12
	s_delay_alu instid0(VALU_DEP_1) | instskip(SKIP_1) | instid1(VALU_DEP_1)
	v_cmp_ne_u32_e32 vcc_lo, 0, v8
	v_and_b32_e32 v8, vcc_lo, v3
	v_bcnt_u32_b32 v8, v8, 0
	s_and_saveexec_b32 s0, s12
	s_cbranch_execz .LBB4_5
; %bb.7:                                ;   in Loop: Header=BB4_6 Depth=1
	v_add_co_u32 v4, vcc_lo, s6, v4
	v_add_co_ci_u32_e32 v5, vcc_lo, s7, v5, vcc_lo
	global_load_b32 v11, v[4:5], off
	v_ashrrev_i32_e32 v5, 31, v7
	v_add_co_u32 v4, vcc_lo, v7, v8
	s_delay_alu instid0(VALU_DEP_2) | instskip(NEXT) | instid1(VALU_DEP_1)
	v_add_co_ci_u32_e32 v5, vcc_lo, 0, v5, vcc_lo
	v_lshlrev_b64 v[4:5], 2, v[4:5]
	s_delay_alu instid0(VALU_DEP_1) | instskip(NEXT) | instid1(VALU_DEP_2)
	v_add_co_u32 v9, vcc_lo, s8, v4
	v_add_co_ci_u32_e32 v10, vcc_lo, s9, v5, vcc_lo
	v_add_co_u32 v4, vcc_lo, s10, v4
	v_add_co_ci_u32_e32 v5, vcc_lo, s11, v5, vcc_lo
	s_waitcnt vmcnt(0)
	v_add_nc_u32_e32 v11, s3, v11
	global_store_b32 v[9:10], v2, off
	global_store_b32 v[4:5], v11, off
	s_branch .LBB4_5
.LBB4_8:
	s_nop 0
	s_sendmsg sendmsg(MSG_DEALLOC_VGPRS)
	s_endpgm
	.section	.rodata,"a",@progbits
	.p2align	6, 0x0
	.amdhsa_kernel _ZN9rocsparseL23csr2csr_compress_kernelILi1024ELi128ELi8ELi32EfEEvii21rocsparse_index_base_PKT3_PKiS6_iS1_PS2_S6_PiNS_24const_host_device_scalarIS2_EEb
		.amdhsa_group_segment_fixed_size 0
		.amdhsa_private_segment_fixed_size 0
		.amdhsa_kernarg_size 84
		.amdhsa_user_sgpr_count 15
		.amdhsa_user_sgpr_dispatch_ptr 0
		.amdhsa_user_sgpr_queue_ptr 0
		.amdhsa_user_sgpr_kernarg_segment_ptr 1
		.amdhsa_user_sgpr_dispatch_id 0
		.amdhsa_user_sgpr_private_segment_size 0
		.amdhsa_wavefront_size32 1
		.amdhsa_uses_dynamic_stack 0
		.amdhsa_enable_private_segment 0
		.amdhsa_system_sgpr_workgroup_id_x 1
		.amdhsa_system_sgpr_workgroup_id_y 0
		.amdhsa_system_sgpr_workgroup_id_z 0
		.amdhsa_system_sgpr_workgroup_info 0
		.amdhsa_system_vgpr_workitem_id 0
		.amdhsa_next_free_vgpr 12
		.amdhsa_next_free_sgpr 16
		.amdhsa_reserve_vcc 1
		.amdhsa_float_round_mode_32 0
		.amdhsa_float_round_mode_16_64 0
		.amdhsa_float_denorm_mode_32 3
		.amdhsa_float_denorm_mode_16_64 3
		.amdhsa_dx10_clamp 1
		.amdhsa_ieee_mode 1
		.amdhsa_fp16_overflow 0
		.amdhsa_workgroup_processor_mode 1
		.amdhsa_memory_ordered 1
		.amdhsa_forward_progress 0
		.amdhsa_shared_vgpr_count 0
		.amdhsa_exception_fp_ieee_invalid_op 0
		.amdhsa_exception_fp_denorm_src 0
		.amdhsa_exception_fp_ieee_div_zero 0
		.amdhsa_exception_fp_ieee_overflow 0
		.amdhsa_exception_fp_ieee_underflow 0
		.amdhsa_exception_fp_ieee_inexact 0
		.amdhsa_exception_int_div_zero 0
	.end_amdhsa_kernel
	.section	.text._ZN9rocsparseL23csr2csr_compress_kernelILi1024ELi128ELi8ELi32EfEEvii21rocsparse_index_base_PKT3_PKiS6_iS1_PS2_S6_PiNS_24const_host_device_scalarIS2_EEb,"axG",@progbits,_ZN9rocsparseL23csr2csr_compress_kernelILi1024ELi128ELi8ELi32EfEEvii21rocsparse_index_base_PKT3_PKiS6_iS1_PS2_S6_PiNS_24const_host_device_scalarIS2_EEb,comdat
.Lfunc_end4:
	.size	_ZN9rocsparseL23csr2csr_compress_kernelILi1024ELi128ELi8ELi32EfEEvii21rocsparse_index_base_PKT3_PKiS6_iS1_PS2_S6_PiNS_24const_host_device_scalarIS2_EEb, .Lfunc_end4-_ZN9rocsparseL23csr2csr_compress_kernelILi1024ELi128ELi8ELi32EfEEvii21rocsparse_index_base_PKT3_PKiS6_iS1_PS2_S6_PiNS_24const_host_device_scalarIS2_EEb
                                        ; -- End function
	.section	.AMDGPU.csdata,"",@progbits
; Kernel info:
; codeLenInByte = 628
; NumSgprs: 18
; NumVgprs: 12
; ScratchSize: 0
; MemoryBound: 0
; FloatMode: 240
; IeeeMode: 1
; LDSByteSize: 0 bytes/workgroup (compile time only)
; SGPRBlocks: 2
; VGPRBlocks: 1
; NumSGPRsForWavesPerEU: 18
; NumVGPRsForWavesPerEU: 12
; Occupancy: 16
; WaveLimiterHint : 0
; COMPUTE_PGM_RSRC2:SCRATCH_EN: 0
; COMPUTE_PGM_RSRC2:USER_SGPR: 15
; COMPUTE_PGM_RSRC2:TRAP_HANDLER: 0
; COMPUTE_PGM_RSRC2:TGID_X_EN: 1
; COMPUTE_PGM_RSRC2:TGID_Y_EN: 0
; COMPUTE_PGM_RSRC2:TGID_Z_EN: 0
; COMPUTE_PGM_RSRC2:TIDIG_COMP_CNT: 0
	.section	.text._ZN9rocsparseL23csr2csr_compress_kernelILi1024ELi64ELi16ELi32EfEEvii21rocsparse_index_base_PKT3_PKiS6_iS1_PS2_S6_PiNS_24const_host_device_scalarIS2_EEb,"axG",@progbits,_ZN9rocsparseL23csr2csr_compress_kernelILi1024ELi64ELi16ELi32EfEEvii21rocsparse_index_base_PKT3_PKiS6_iS1_PS2_S6_PiNS_24const_host_device_scalarIS2_EEb,comdat
	.globl	_ZN9rocsparseL23csr2csr_compress_kernelILi1024ELi64ELi16ELi32EfEEvii21rocsparse_index_base_PKT3_PKiS6_iS1_PS2_S6_PiNS_24const_host_device_scalarIS2_EEb ; -- Begin function _ZN9rocsparseL23csr2csr_compress_kernelILi1024ELi64ELi16ELi32EfEEvii21rocsparse_index_base_PKT3_PKiS6_iS1_PS2_S6_PiNS_24const_host_device_scalarIS2_EEb
	.p2align	8
	.type	_ZN9rocsparseL23csr2csr_compress_kernelILi1024ELi64ELi16ELi32EfEEvii21rocsparse_index_base_PKT3_PKiS6_iS1_PS2_S6_PiNS_24const_host_device_scalarIS2_EEb,@function
_ZN9rocsparseL23csr2csr_compress_kernelILi1024ELi64ELi16ELi32EfEEvii21rocsparse_index_base_PKT3_PKiS6_iS1_PS2_S6_PiNS_24const_host_device_scalarIS2_EEb: ; @_ZN9rocsparseL23csr2csr_compress_kernelILi1024ELi64ELi16ELi32EfEEvii21rocsparse_index_base_PKT3_PKiS6_iS1_PS2_S6_PiNS_24const_host_device_scalarIS2_EEb
; %bb.0:
	s_clause 0x1
	s_load_b32 s4, s[0:1], 0x50
	s_load_b64 s[2:3], s[0:1], 0x48
	s_waitcnt lgkmcnt(0)
	s_bitcmp1_b32 s4, 0
	s_cselect_b32 s4, -1, 0
	s_delay_alu instid0(SALU_CYCLE_1)
	s_and_b32 vcc_lo, exec_lo, s4
	s_cbranch_vccnz .LBB5_2
; %bb.1:
	s_load_b32 s2, s[2:3], 0x0
.LBB5_2:
	s_load_b32 s3, s[0:1], 0x0
	v_lshrrev_b32_e32 v1, 4, v0
	s_delay_alu instid0(VALU_DEP_1) | instskip(SKIP_1) | instid1(VALU_DEP_1)
	v_lshl_or_b32 v1, s15, 6, v1
	s_waitcnt lgkmcnt(0)
	v_cmp_gt_i32_e32 vcc_lo, s3, v1
	s_and_saveexec_b32 s3, vcc_lo
	s_cbranch_execz .LBB5_8
; %bb.3:
	s_clause 0x1
	s_load_b64 s[4:5], s[0:1], 0x18
	s_load_b32 s3, s[0:1], 0x8
	v_ashrrev_i32_e32 v2, 31, v1
	s_delay_alu instid0(VALU_DEP_1) | instskip(SKIP_1) | instid1(VALU_DEP_1)
	v_lshlrev_b64 v[2:3], 2, v[1:2]
	s_waitcnt lgkmcnt(0)
	v_add_co_u32 v4, vcc_lo, s4, v2
	s_delay_alu instid0(VALU_DEP_2) | instskip(SKIP_2) | instid1(VALU_DEP_1)
	v_add_co_ci_u32_e32 v5, vcc_lo, s5, v3, vcc_lo
	global_load_b64 v[5:6], v[4:5], off
	v_and_b32_e32 v4, 15, v0
	v_subrev_nc_u32_e32 v1, s3, v4
	s_waitcnt vmcnt(0)
	v_subrev_nc_u32_e32 v6, s3, v6
	s_delay_alu instid0(VALU_DEP_2) | instskip(NEXT) | instid1(VALU_DEP_1)
	v_add_nc_u32_e32 v1, v5, v1
	v_cmp_lt_i32_e32 vcc_lo, v1, v6
	s_and_b32 exec_lo, exec_lo, vcc_lo
	s_cbranch_execz .LBB5_8
; %bb.4:
	s_clause 0x1
	s_load_b128 s[8:11], s[0:1], 0x30
	s_load_b64 s[12:13], s[0:1], 0x40
	v_and_b32_e32 v7, 16, v0
	s_waitcnt lgkmcnt(0)
	v_add_co_u32 v2, vcc_lo, s10, v2
	v_add_co_ci_u32_e32 v3, vcc_lo, s11, v3, vcc_lo
	global_load_b32 v5, v[2:3], off
	s_clause 0x2
	s_load_b32 s10, s[0:1], 0x2c
	s_load_b64 s[4:5], s[0:1], 0x10
	s_load_b64 s[6:7], s[0:1], 0x20
	v_xor_b32_e32 v2, 63, v4
	v_mbcnt_lo_u32_b32 v4, -1, 0
	s_mov_b32 s1, 0
	s_delay_alu instid0(VALU_DEP_2) | instskip(NEXT) | instid1(VALU_DEP_2)
	v_lshrrev_b64 v[2:3], v2, -1
	v_lshl_or_b32 v0, v4, 2, 60
	s_delay_alu instid0(VALU_DEP_2)
	v_lshlrev_b64 v[3:4], v7, v[2:3]
	s_waitcnt lgkmcnt(0)
	s_sub_i32 s3, s10, s3
	s_add_u32 s8, s8, -4
	s_addc_u32 s9, s9, -1
	s_waitcnt vmcnt(0)
	v_subrev_nc_u32_e32 v7, s10, v5
	s_add_u32 s10, s12, -4
	s_addc_u32 s11, s13, -1
	s_branch .LBB5_6
.LBB5_5:                                ;   in Loop: Header=BB5_6 Depth=1
	s_or_b32 exec_lo, exec_lo, s0
	ds_bpermute_b32 v2, v0, v8
	v_add_nc_u32_e32 v1, 16, v1
	s_delay_alu instid0(VALU_DEP_1)
	v_cmp_ge_i32_e32 vcc_lo, v1, v6
	s_or_b32 s1, vcc_lo, s1
	s_waitcnt lgkmcnt(0)
	v_add_nc_u32_e32 v7, v2, v7
	s_and_not1_b32 exec_lo, exec_lo, s1
	s_cbranch_execz .LBB5_8
.LBB5_6:                                ; =>This Inner Loop Header: Depth=1
	v_ashrrev_i32_e32 v2, 31, v1
	s_delay_alu instid0(VALU_DEP_1) | instskip(NEXT) | instid1(VALU_DEP_1)
	v_lshlrev_b64 v[4:5], 2, v[1:2]
	v_add_co_u32 v8, vcc_lo, s4, v4
	s_delay_alu instid0(VALU_DEP_2) | instskip(SKIP_4) | instid1(VALU_DEP_1)
	v_add_co_ci_u32_e32 v9, vcc_lo, s5, v5, vcc_lo
	global_load_b32 v2, v[8:9], off
	s_waitcnt vmcnt(0)
	v_cmp_gt_f32_e32 vcc_lo, 0, v2
	v_cndmask_b32_e64 v8, v2, -v2, vcc_lo
	v_cmp_lt_f32_e32 vcc_lo, s2, v8
	v_cmp_lt_f32_e64 s0, 0x800000, v8
	s_delay_alu instid0(VALU_DEP_1) | instskip(NEXT) | instid1(SALU_CYCLE_1)
	s_and_b32 s12, vcc_lo, s0
	v_cndmask_b32_e64 v8, 0, 1, s12
	s_delay_alu instid0(VALU_DEP_1) | instskip(SKIP_1) | instid1(VALU_DEP_1)
	v_cmp_ne_u32_e32 vcc_lo, 0, v8
	v_and_b32_e32 v8, vcc_lo, v3
	v_bcnt_u32_b32 v8, v8, 0
	s_and_saveexec_b32 s0, s12
	s_cbranch_execz .LBB5_5
; %bb.7:                                ;   in Loop: Header=BB5_6 Depth=1
	v_add_co_u32 v4, vcc_lo, s6, v4
	v_add_co_ci_u32_e32 v5, vcc_lo, s7, v5, vcc_lo
	global_load_b32 v11, v[4:5], off
	v_ashrrev_i32_e32 v5, 31, v7
	v_add_co_u32 v4, vcc_lo, v7, v8
	s_delay_alu instid0(VALU_DEP_2) | instskip(NEXT) | instid1(VALU_DEP_1)
	v_add_co_ci_u32_e32 v5, vcc_lo, 0, v5, vcc_lo
	v_lshlrev_b64 v[4:5], 2, v[4:5]
	s_delay_alu instid0(VALU_DEP_1) | instskip(NEXT) | instid1(VALU_DEP_2)
	v_add_co_u32 v9, vcc_lo, s8, v4
	v_add_co_ci_u32_e32 v10, vcc_lo, s9, v5, vcc_lo
	v_add_co_u32 v4, vcc_lo, s10, v4
	v_add_co_ci_u32_e32 v5, vcc_lo, s11, v5, vcc_lo
	s_waitcnt vmcnt(0)
	v_add_nc_u32_e32 v11, s3, v11
	global_store_b32 v[9:10], v2, off
	global_store_b32 v[4:5], v11, off
	s_branch .LBB5_5
.LBB5_8:
	s_nop 0
	s_sendmsg sendmsg(MSG_DEALLOC_VGPRS)
	s_endpgm
	.section	.rodata,"a",@progbits
	.p2align	6, 0x0
	.amdhsa_kernel _ZN9rocsparseL23csr2csr_compress_kernelILi1024ELi64ELi16ELi32EfEEvii21rocsparse_index_base_PKT3_PKiS6_iS1_PS2_S6_PiNS_24const_host_device_scalarIS2_EEb
		.amdhsa_group_segment_fixed_size 0
		.amdhsa_private_segment_fixed_size 0
		.amdhsa_kernarg_size 84
		.amdhsa_user_sgpr_count 15
		.amdhsa_user_sgpr_dispatch_ptr 0
		.amdhsa_user_sgpr_queue_ptr 0
		.amdhsa_user_sgpr_kernarg_segment_ptr 1
		.amdhsa_user_sgpr_dispatch_id 0
		.amdhsa_user_sgpr_private_segment_size 0
		.amdhsa_wavefront_size32 1
		.amdhsa_uses_dynamic_stack 0
		.amdhsa_enable_private_segment 0
		.amdhsa_system_sgpr_workgroup_id_x 1
		.amdhsa_system_sgpr_workgroup_id_y 0
		.amdhsa_system_sgpr_workgroup_id_z 0
		.amdhsa_system_sgpr_workgroup_info 0
		.amdhsa_system_vgpr_workitem_id 0
		.amdhsa_next_free_vgpr 12
		.amdhsa_next_free_sgpr 16
		.amdhsa_reserve_vcc 1
		.amdhsa_float_round_mode_32 0
		.amdhsa_float_round_mode_16_64 0
		.amdhsa_float_denorm_mode_32 3
		.amdhsa_float_denorm_mode_16_64 3
		.amdhsa_dx10_clamp 1
		.amdhsa_ieee_mode 1
		.amdhsa_fp16_overflow 0
		.amdhsa_workgroup_processor_mode 1
		.amdhsa_memory_ordered 1
		.amdhsa_forward_progress 0
		.amdhsa_shared_vgpr_count 0
		.amdhsa_exception_fp_ieee_invalid_op 0
		.amdhsa_exception_fp_denorm_src 0
		.amdhsa_exception_fp_ieee_div_zero 0
		.amdhsa_exception_fp_ieee_overflow 0
		.amdhsa_exception_fp_ieee_underflow 0
		.amdhsa_exception_fp_ieee_inexact 0
		.amdhsa_exception_int_div_zero 0
	.end_amdhsa_kernel
	.section	.text._ZN9rocsparseL23csr2csr_compress_kernelILi1024ELi64ELi16ELi32EfEEvii21rocsparse_index_base_PKT3_PKiS6_iS1_PS2_S6_PiNS_24const_host_device_scalarIS2_EEb,"axG",@progbits,_ZN9rocsparseL23csr2csr_compress_kernelILi1024ELi64ELi16ELi32EfEEvii21rocsparse_index_base_PKT3_PKiS6_iS1_PS2_S6_PiNS_24const_host_device_scalarIS2_EEb,comdat
.Lfunc_end5:
	.size	_ZN9rocsparseL23csr2csr_compress_kernelILi1024ELi64ELi16ELi32EfEEvii21rocsparse_index_base_PKT3_PKiS6_iS1_PS2_S6_PiNS_24const_host_device_scalarIS2_EEb, .Lfunc_end5-_ZN9rocsparseL23csr2csr_compress_kernelILi1024ELi64ELi16ELi32EfEEvii21rocsparse_index_base_PKT3_PKiS6_iS1_PS2_S6_PiNS_24const_host_device_scalarIS2_EEb
                                        ; -- End function
	.section	.AMDGPU.csdata,"",@progbits
; Kernel info:
; codeLenInByte = 628
; NumSgprs: 18
; NumVgprs: 12
; ScratchSize: 0
; MemoryBound: 0
; FloatMode: 240
; IeeeMode: 1
; LDSByteSize: 0 bytes/workgroup (compile time only)
; SGPRBlocks: 2
; VGPRBlocks: 1
; NumSGPRsForWavesPerEU: 18
; NumVGPRsForWavesPerEU: 12
; Occupancy: 16
; WaveLimiterHint : 0
; COMPUTE_PGM_RSRC2:SCRATCH_EN: 0
; COMPUTE_PGM_RSRC2:USER_SGPR: 15
; COMPUTE_PGM_RSRC2:TRAP_HANDLER: 0
; COMPUTE_PGM_RSRC2:TGID_X_EN: 1
; COMPUTE_PGM_RSRC2:TGID_Y_EN: 0
; COMPUTE_PGM_RSRC2:TGID_Z_EN: 0
; COMPUTE_PGM_RSRC2:TIDIG_COMP_CNT: 0
	.section	.text._ZN9rocsparseL23csr2csr_compress_kernelILi1024ELi32ELi32ELi32EfEEvii21rocsparse_index_base_PKT3_PKiS6_iS1_PS2_S6_PiNS_24const_host_device_scalarIS2_EEb,"axG",@progbits,_ZN9rocsparseL23csr2csr_compress_kernelILi1024ELi32ELi32ELi32EfEEvii21rocsparse_index_base_PKT3_PKiS6_iS1_PS2_S6_PiNS_24const_host_device_scalarIS2_EEb,comdat
	.globl	_ZN9rocsparseL23csr2csr_compress_kernelILi1024ELi32ELi32ELi32EfEEvii21rocsparse_index_base_PKT3_PKiS6_iS1_PS2_S6_PiNS_24const_host_device_scalarIS2_EEb ; -- Begin function _ZN9rocsparseL23csr2csr_compress_kernelILi1024ELi32ELi32ELi32EfEEvii21rocsparse_index_base_PKT3_PKiS6_iS1_PS2_S6_PiNS_24const_host_device_scalarIS2_EEb
	.p2align	8
	.type	_ZN9rocsparseL23csr2csr_compress_kernelILi1024ELi32ELi32ELi32EfEEvii21rocsparse_index_base_PKT3_PKiS6_iS1_PS2_S6_PiNS_24const_host_device_scalarIS2_EEb,@function
_ZN9rocsparseL23csr2csr_compress_kernelILi1024ELi32ELi32ELi32EfEEvii21rocsparse_index_base_PKT3_PKiS6_iS1_PS2_S6_PiNS_24const_host_device_scalarIS2_EEb: ; @_ZN9rocsparseL23csr2csr_compress_kernelILi1024ELi32ELi32ELi32EfEEvii21rocsparse_index_base_PKT3_PKiS6_iS1_PS2_S6_PiNS_24const_host_device_scalarIS2_EEb
; %bb.0:
	s_clause 0x1
	s_load_b32 s4, s[0:1], 0x50
	s_load_b64 s[2:3], s[0:1], 0x48
	s_waitcnt lgkmcnt(0)
	s_bitcmp1_b32 s4, 0
	s_cselect_b32 s4, -1, 0
	s_delay_alu instid0(SALU_CYCLE_1)
	s_and_b32 vcc_lo, exec_lo, s4
	s_cbranch_vccnz .LBB6_2
; %bb.1:
	s_load_b32 s2, s[2:3], 0x0
.LBB6_2:
	s_load_b32 s3, s[0:1], 0x0
	v_lshrrev_b32_e32 v1, 5, v0
	s_delay_alu instid0(VALU_DEP_1) | instskip(SKIP_1) | instid1(VALU_DEP_1)
	v_lshl_or_b32 v1, s15, 5, v1
	s_waitcnt lgkmcnt(0)
	v_cmp_gt_i32_e32 vcc_lo, s3, v1
	s_and_saveexec_b32 s3, vcc_lo
	s_cbranch_execz .LBB6_8
; %bb.3:
	s_clause 0x1
	s_load_b64 s[4:5], s[0:1], 0x18
	s_load_b32 s3, s[0:1], 0x8
	v_ashrrev_i32_e32 v2, 31, v1
	s_delay_alu instid0(VALU_DEP_1) | instskip(SKIP_1) | instid1(VALU_DEP_1)
	v_lshlrev_b64 v[1:2], 2, v[1:2]
	s_waitcnt lgkmcnt(0)
	v_add_co_u32 v3, vcc_lo, s4, v1
	s_delay_alu instid0(VALU_DEP_2) | instskip(SKIP_2) | instid1(VALU_DEP_1)
	v_add_co_ci_u32_e32 v4, vcc_lo, s5, v2, vcc_lo
	global_load_b64 v[4:5], v[3:4], off
	v_and_b32_e32 v3, 31, v0
	v_subrev_nc_u32_e32 v0, s3, v3
	s_waitcnt vmcnt(0)
	v_subrev_nc_u32_e32 v5, s3, v5
	s_delay_alu instid0(VALU_DEP_2) | instskip(NEXT) | instid1(VALU_DEP_1)
	v_add_nc_u32_e32 v0, v4, v0
	v_cmp_lt_i32_e32 vcc_lo, v0, v5
	s_and_b32 exec_lo, exec_lo, vcc_lo
	s_cbranch_execz .LBB6_8
; %bb.4:
	s_clause 0x1
	s_load_b128 s[8:11], s[0:1], 0x30
	s_load_b64 s[12:13], s[0:1], 0x40
	v_mov_b32_e32 v6, 0x7c
	s_waitcnt lgkmcnt(0)
	v_add_co_u32 v1, vcc_lo, s10, v1
	v_add_co_ci_u32_e32 v2, vcc_lo, s11, v2, vcc_lo
	s_mov_b32 s11, 0
	global_load_b32 v1, v[1:2], off
	s_clause 0x2
	s_load_b32 s10, s[0:1], 0x2c
	s_load_b64 s[4:5], s[0:1], 0x10
	s_load_b64 s[6:7], s[0:1], 0x20
	v_xor_b32_e32 v2, 63, v3
	s_delay_alu instid0(VALU_DEP_1)
	v_lshrrev_b64 v[2:3], v2, -1
	s_waitcnt lgkmcnt(0)
	s_sub_i32 s1, s10, s3
	s_add_u32 s3, s8, -4
	s_addc_u32 s8, s9, -1
	s_add_u32 s9, s12, -4
	s_waitcnt vmcnt(0)
	v_subrev_nc_u32_e32 v7, s10, v1
	s_addc_u32 s10, s13, -1
	s_branch .LBB6_6
.LBB6_5:                                ;   in Loop: Header=BB6_6 Depth=1
	s_or_b32 exec_lo, exec_lo, s0
	ds_bpermute_b32 v1, v6, v8
	v_add_nc_u32_e32 v0, 32, v0
	s_delay_alu instid0(VALU_DEP_1)
	v_cmp_ge_i32_e32 vcc_lo, v0, v5
	s_or_b32 s11, vcc_lo, s11
	s_waitcnt lgkmcnt(0)
	v_add_nc_u32_e32 v7, v1, v7
	s_and_not1_b32 exec_lo, exec_lo, s11
	s_cbranch_execz .LBB6_8
.LBB6_6:                                ; =>This Inner Loop Header: Depth=1
	v_ashrrev_i32_e32 v1, 31, v0
	s_delay_alu instid0(VALU_DEP_1) | instskip(NEXT) | instid1(VALU_DEP_1)
	v_lshlrev_b64 v[3:4], 2, v[0:1]
	v_add_co_u32 v8, vcc_lo, s4, v3
	s_delay_alu instid0(VALU_DEP_2) | instskip(SKIP_4) | instid1(VALU_DEP_1)
	v_add_co_ci_u32_e32 v9, vcc_lo, s5, v4, vcc_lo
	global_load_b32 v1, v[8:9], off
	s_waitcnt vmcnt(0)
	v_cmp_gt_f32_e32 vcc_lo, 0, v1
	v_cndmask_b32_e64 v8, v1, -v1, vcc_lo
	v_cmp_lt_f32_e32 vcc_lo, s2, v8
	v_cmp_lt_f32_e64 s0, 0x800000, v8
	s_delay_alu instid0(VALU_DEP_1) | instskip(NEXT) | instid1(SALU_CYCLE_1)
	s_and_b32 s12, vcc_lo, s0
	v_cndmask_b32_e64 v8, 0, 1, s12
	s_delay_alu instid0(VALU_DEP_1) | instskip(SKIP_1) | instid1(VALU_DEP_1)
	v_cmp_ne_u32_e32 vcc_lo, 0, v8
	v_and_b32_e32 v8, vcc_lo, v2
	v_bcnt_u32_b32 v8, v8, 0
	s_and_saveexec_b32 s0, s12
	s_cbranch_execz .LBB6_5
; %bb.7:                                ;   in Loop: Header=BB6_6 Depth=1
	v_add_co_u32 v3, vcc_lo, s6, v3
	v_add_co_ci_u32_e32 v4, vcc_lo, s7, v4, vcc_lo
	global_load_b32 v11, v[3:4], off
	v_ashrrev_i32_e32 v4, 31, v7
	v_add_co_u32 v3, vcc_lo, v7, v8
	s_delay_alu instid0(VALU_DEP_2) | instskip(NEXT) | instid1(VALU_DEP_1)
	v_add_co_ci_u32_e32 v4, vcc_lo, 0, v4, vcc_lo
	v_lshlrev_b64 v[3:4], 2, v[3:4]
	s_delay_alu instid0(VALU_DEP_1) | instskip(NEXT) | instid1(VALU_DEP_2)
	v_add_co_u32 v9, vcc_lo, s3, v3
	v_add_co_ci_u32_e32 v10, vcc_lo, s8, v4, vcc_lo
	v_add_co_u32 v3, vcc_lo, s9, v3
	v_add_co_ci_u32_e32 v4, vcc_lo, s10, v4, vcc_lo
	s_waitcnt vmcnt(0)
	v_add_nc_u32_e32 v11, s1, v11
	global_store_b32 v[9:10], v1, off
	global_store_b32 v[3:4], v11, off
	s_branch .LBB6_5
.LBB6_8:
	s_nop 0
	s_sendmsg sendmsg(MSG_DEALLOC_VGPRS)
	s_endpgm
	.section	.rodata,"a",@progbits
	.p2align	6, 0x0
	.amdhsa_kernel _ZN9rocsparseL23csr2csr_compress_kernelILi1024ELi32ELi32ELi32EfEEvii21rocsparse_index_base_PKT3_PKiS6_iS1_PS2_S6_PiNS_24const_host_device_scalarIS2_EEb
		.amdhsa_group_segment_fixed_size 0
		.amdhsa_private_segment_fixed_size 0
		.amdhsa_kernarg_size 84
		.amdhsa_user_sgpr_count 15
		.amdhsa_user_sgpr_dispatch_ptr 0
		.amdhsa_user_sgpr_queue_ptr 0
		.amdhsa_user_sgpr_kernarg_segment_ptr 1
		.amdhsa_user_sgpr_dispatch_id 0
		.amdhsa_user_sgpr_private_segment_size 0
		.amdhsa_wavefront_size32 1
		.amdhsa_uses_dynamic_stack 0
		.amdhsa_enable_private_segment 0
		.amdhsa_system_sgpr_workgroup_id_x 1
		.amdhsa_system_sgpr_workgroup_id_y 0
		.amdhsa_system_sgpr_workgroup_id_z 0
		.amdhsa_system_sgpr_workgroup_info 0
		.amdhsa_system_vgpr_workitem_id 0
		.amdhsa_next_free_vgpr 12
		.amdhsa_next_free_sgpr 16
		.amdhsa_reserve_vcc 1
		.amdhsa_float_round_mode_32 0
		.amdhsa_float_round_mode_16_64 0
		.amdhsa_float_denorm_mode_32 3
		.amdhsa_float_denorm_mode_16_64 3
		.amdhsa_dx10_clamp 1
		.amdhsa_ieee_mode 1
		.amdhsa_fp16_overflow 0
		.amdhsa_workgroup_processor_mode 1
		.amdhsa_memory_ordered 1
		.amdhsa_forward_progress 0
		.amdhsa_shared_vgpr_count 0
		.amdhsa_exception_fp_ieee_invalid_op 0
		.amdhsa_exception_fp_denorm_src 0
		.amdhsa_exception_fp_ieee_div_zero 0
		.amdhsa_exception_fp_ieee_overflow 0
		.amdhsa_exception_fp_ieee_underflow 0
		.amdhsa_exception_fp_ieee_inexact 0
		.amdhsa_exception_int_div_zero 0
	.end_amdhsa_kernel
	.section	.text._ZN9rocsparseL23csr2csr_compress_kernelILi1024ELi32ELi32ELi32EfEEvii21rocsparse_index_base_PKT3_PKiS6_iS1_PS2_S6_PiNS_24const_host_device_scalarIS2_EEb,"axG",@progbits,_ZN9rocsparseL23csr2csr_compress_kernelILi1024ELi32ELi32ELi32EfEEvii21rocsparse_index_base_PKT3_PKiS6_iS1_PS2_S6_PiNS_24const_host_device_scalarIS2_EEb,comdat
.Lfunc_end6:
	.size	_ZN9rocsparseL23csr2csr_compress_kernelILi1024ELi32ELi32ELi32EfEEvii21rocsparse_index_base_PKT3_PKiS6_iS1_PS2_S6_PiNS_24const_host_device_scalarIS2_EEb, .Lfunc_end6-_ZN9rocsparseL23csr2csr_compress_kernelILi1024ELi32ELi32ELi32EfEEvii21rocsparse_index_base_PKT3_PKiS6_iS1_PS2_S6_PiNS_24const_host_device_scalarIS2_EEb
                                        ; -- End function
	.section	.AMDGPU.csdata,"",@progbits
; Kernel info:
; codeLenInByte = 604
; NumSgprs: 18
; NumVgprs: 12
; ScratchSize: 0
; MemoryBound: 0
; FloatMode: 240
; IeeeMode: 1
; LDSByteSize: 0 bytes/workgroup (compile time only)
; SGPRBlocks: 2
; VGPRBlocks: 1
; NumSGPRsForWavesPerEU: 18
; NumVGPRsForWavesPerEU: 12
; Occupancy: 16
; WaveLimiterHint : 0
; COMPUTE_PGM_RSRC2:SCRATCH_EN: 0
; COMPUTE_PGM_RSRC2:USER_SGPR: 15
; COMPUTE_PGM_RSRC2:TRAP_HANDLER: 0
; COMPUTE_PGM_RSRC2:TGID_X_EN: 1
; COMPUTE_PGM_RSRC2:TGID_Y_EN: 0
; COMPUTE_PGM_RSRC2:TGID_Z_EN: 0
; COMPUTE_PGM_RSRC2:TIDIG_COMP_CNT: 0
	.section	.text._ZN9rocsparseL23csr2csr_compress_kernelILi1024ELi512ELi2ELi64EfEEvii21rocsparse_index_base_PKT3_PKiS6_iS1_PS2_S6_PiNS_24const_host_device_scalarIS2_EEb,"axG",@progbits,_ZN9rocsparseL23csr2csr_compress_kernelILi1024ELi512ELi2ELi64EfEEvii21rocsparse_index_base_PKT3_PKiS6_iS1_PS2_S6_PiNS_24const_host_device_scalarIS2_EEb,comdat
	.globl	_ZN9rocsparseL23csr2csr_compress_kernelILi1024ELi512ELi2ELi64EfEEvii21rocsparse_index_base_PKT3_PKiS6_iS1_PS2_S6_PiNS_24const_host_device_scalarIS2_EEb ; -- Begin function _ZN9rocsparseL23csr2csr_compress_kernelILi1024ELi512ELi2ELi64EfEEvii21rocsparse_index_base_PKT3_PKiS6_iS1_PS2_S6_PiNS_24const_host_device_scalarIS2_EEb
	.p2align	8
	.type	_ZN9rocsparseL23csr2csr_compress_kernelILi1024ELi512ELi2ELi64EfEEvii21rocsparse_index_base_PKT3_PKiS6_iS1_PS2_S6_PiNS_24const_host_device_scalarIS2_EEb,@function
_ZN9rocsparseL23csr2csr_compress_kernelILi1024ELi512ELi2ELi64EfEEvii21rocsparse_index_base_PKT3_PKiS6_iS1_PS2_S6_PiNS_24const_host_device_scalarIS2_EEb: ; @_ZN9rocsparseL23csr2csr_compress_kernelILi1024ELi512ELi2ELi64EfEEvii21rocsparse_index_base_PKT3_PKiS6_iS1_PS2_S6_PiNS_24const_host_device_scalarIS2_EEb
; %bb.0:
	s_clause 0x1
	s_load_b32 s4, s[0:1], 0x50
	s_load_b64 s[2:3], s[0:1], 0x48
	s_waitcnt lgkmcnt(0)
	s_bitcmp1_b32 s4, 0
	s_cselect_b32 s4, -1, 0
	s_delay_alu instid0(SALU_CYCLE_1)
	s_and_b32 vcc_lo, exec_lo, s4
	s_cbranch_vccnz .LBB7_2
; %bb.1:
	s_load_b32 s2, s[2:3], 0x0
.LBB7_2:
	s_load_b32 s3, s[0:1], 0x0
	v_lshrrev_b32_e32 v1, 1, v0
	s_delay_alu instid0(VALU_DEP_1) | instskip(SKIP_1) | instid1(VALU_DEP_1)
	v_lshl_or_b32 v1, s15, 9, v1
	s_waitcnt lgkmcnt(0)
	v_cmp_gt_i32_e32 vcc_lo, s3, v1
	s_and_saveexec_b32 s3, vcc_lo
	s_cbranch_execz .LBB7_8
; %bb.3:
	s_clause 0x1
	s_load_b64 s[4:5], s[0:1], 0x18
	s_load_b32 s3, s[0:1], 0x8
	v_ashrrev_i32_e32 v2, 31, v1
	s_delay_alu instid0(VALU_DEP_1) | instskip(SKIP_1) | instid1(VALU_DEP_1)
	v_lshlrev_b64 v[2:3], 2, v[1:2]
	s_waitcnt lgkmcnt(0)
	v_add_co_u32 v4, vcc_lo, s4, v2
	s_delay_alu instid0(VALU_DEP_2) | instskip(SKIP_2) | instid1(VALU_DEP_1)
	v_add_co_ci_u32_e32 v5, vcc_lo, s5, v3, vcc_lo
	global_load_b64 v[5:6], v[4:5], off
	v_and_b32_e32 v4, 1, v0
	v_subrev_nc_u32_e32 v1, s3, v4
	s_waitcnt vmcnt(0)
	v_subrev_nc_u32_e32 v6, s3, v6
	s_delay_alu instid0(VALU_DEP_2) | instskip(NEXT) | instid1(VALU_DEP_1)
	v_add_nc_u32_e32 v1, v5, v1
	v_cmp_lt_i32_e32 vcc_lo, v1, v6
	s_and_b32 exec_lo, exec_lo, vcc_lo
	s_cbranch_execz .LBB7_8
; %bb.4:
	s_clause 0x1
	s_load_b128 s[8:11], s[0:1], 0x30
	s_load_b64 s[12:13], s[0:1], 0x40
	v_and_b32_e32 v7, 62, v0
	s_waitcnt lgkmcnt(0)
	v_add_co_u32 v2, vcc_lo, s10, v2
	v_add_co_ci_u32_e32 v3, vcc_lo, s11, v3, vcc_lo
	global_load_b32 v5, v[2:3], off
	s_clause 0x2
	s_load_b32 s10, s[0:1], 0x2c
	s_load_b64 s[4:5], s[0:1], 0x10
	s_load_b64 s[6:7], s[0:1], 0x20
	v_xor_b32_e32 v2, 63, v4
	v_mbcnt_lo_u32_b32 v4, -1, 0
	s_mov_b32 s1, 0
	s_delay_alu instid0(VALU_DEP_2) | instskip(NEXT) | instid1(VALU_DEP_2)
	v_lshrrev_b64 v[2:3], v2, -1
	v_lshl_or_b32 v0, v4, 2, 4
	s_delay_alu instid0(VALU_DEP_2)
	v_lshlrev_b64 v[3:4], v7, v[2:3]
	s_waitcnt lgkmcnt(0)
	s_sub_i32 s3, s10, s3
	s_add_u32 s8, s8, -4
	s_addc_u32 s9, s9, -1
	s_waitcnt vmcnt(0)
	v_subrev_nc_u32_e32 v7, s10, v5
	s_add_u32 s10, s12, -4
	s_addc_u32 s11, s13, -1
	s_branch .LBB7_6
.LBB7_5:                                ;   in Loop: Header=BB7_6 Depth=1
	s_or_b32 exec_lo, exec_lo, s0
	ds_bpermute_b32 v2, v0, v8
	v_add_nc_u32_e32 v1, 2, v1
	s_delay_alu instid0(VALU_DEP_1)
	v_cmp_ge_i32_e32 vcc_lo, v1, v6
	s_or_b32 s1, vcc_lo, s1
	s_waitcnt lgkmcnt(0)
	v_add_nc_u32_e32 v7, v2, v7
	s_and_not1_b32 exec_lo, exec_lo, s1
	s_cbranch_execz .LBB7_8
.LBB7_6:                                ; =>This Inner Loop Header: Depth=1
	v_ashrrev_i32_e32 v2, 31, v1
	s_delay_alu instid0(VALU_DEP_1) | instskip(NEXT) | instid1(VALU_DEP_1)
	v_lshlrev_b64 v[4:5], 2, v[1:2]
	v_add_co_u32 v8, vcc_lo, s4, v4
	s_delay_alu instid0(VALU_DEP_2) | instskip(SKIP_4) | instid1(VALU_DEP_1)
	v_add_co_ci_u32_e32 v9, vcc_lo, s5, v5, vcc_lo
	global_load_b32 v2, v[8:9], off
	s_waitcnt vmcnt(0)
	v_cmp_gt_f32_e32 vcc_lo, 0, v2
	v_cndmask_b32_e64 v8, v2, -v2, vcc_lo
	v_cmp_lt_f32_e32 vcc_lo, s2, v8
	v_cmp_lt_f32_e64 s0, 0x800000, v8
	s_delay_alu instid0(VALU_DEP_1) | instskip(NEXT) | instid1(SALU_CYCLE_1)
	s_and_b32 s12, vcc_lo, s0
	v_cndmask_b32_e64 v8, 0, 1, s12
	s_delay_alu instid0(VALU_DEP_1) | instskip(SKIP_1) | instid1(VALU_DEP_1)
	v_cmp_ne_u32_e32 vcc_lo, 0, v8
	v_and_b32_e32 v8, vcc_lo, v3
	v_bcnt_u32_b32 v8, v8, 0
	s_and_saveexec_b32 s0, s12
	s_cbranch_execz .LBB7_5
; %bb.7:                                ;   in Loop: Header=BB7_6 Depth=1
	v_add_co_u32 v4, vcc_lo, s6, v4
	v_add_co_ci_u32_e32 v5, vcc_lo, s7, v5, vcc_lo
	global_load_b32 v11, v[4:5], off
	v_ashrrev_i32_e32 v5, 31, v7
	v_add_co_u32 v4, vcc_lo, v7, v8
	s_delay_alu instid0(VALU_DEP_2) | instskip(NEXT) | instid1(VALU_DEP_1)
	v_add_co_ci_u32_e32 v5, vcc_lo, 0, v5, vcc_lo
	v_lshlrev_b64 v[4:5], 2, v[4:5]
	s_delay_alu instid0(VALU_DEP_1) | instskip(NEXT) | instid1(VALU_DEP_2)
	v_add_co_u32 v9, vcc_lo, s8, v4
	v_add_co_ci_u32_e32 v10, vcc_lo, s9, v5, vcc_lo
	v_add_co_u32 v4, vcc_lo, s10, v4
	v_add_co_ci_u32_e32 v5, vcc_lo, s11, v5, vcc_lo
	s_waitcnt vmcnt(0)
	v_add_nc_u32_e32 v11, s3, v11
	global_store_b32 v[9:10], v2, off
	global_store_b32 v[4:5], v11, off
	s_branch .LBB7_5
.LBB7_8:
	s_nop 0
	s_sendmsg sendmsg(MSG_DEALLOC_VGPRS)
	s_endpgm
	.section	.rodata,"a",@progbits
	.p2align	6, 0x0
	.amdhsa_kernel _ZN9rocsparseL23csr2csr_compress_kernelILi1024ELi512ELi2ELi64EfEEvii21rocsparse_index_base_PKT3_PKiS6_iS1_PS2_S6_PiNS_24const_host_device_scalarIS2_EEb
		.amdhsa_group_segment_fixed_size 0
		.amdhsa_private_segment_fixed_size 0
		.amdhsa_kernarg_size 84
		.amdhsa_user_sgpr_count 15
		.amdhsa_user_sgpr_dispatch_ptr 0
		.amdhsa_user_sgpr_queue_ptr 0
		.amdhsa_user_sgpr_kernarg_segment_ptr 1
		.amdhsa_user_sgpr_dispatch_id 0
		.amdhsa_user_sgpr_private_segment_size 0
		.amdhsa_wavefront_size32 1
		.amdhsa_uses_dynamic_stack 0
		.amdhsa_enable_private_segment 0
		.amdhsa_system_sgpr_workgroup_id_x 1
		.amdhsa_system_sgpr_workgroup_id_y 0
		.amdhsa_system_sgpr_workgroup_id_z 0
		.amdhsa_system_sgpr_workgroup_info 0
		.amdhsa_system_vgpr_workitem_id 0
		.amdhsa_next_free_vgpr 12
		.amdhsa_next_free_sgpr 16
		.amdhsa_reserve_vcc 1
		.amdhsa_float_round_mode_32 0
		.amdhsa_float_round_mode_16_64 0
		.amdhsa_float_denorm_mode_32 3
		.amdhsa_float_denorm_mode_16_64 3
		.amdhsa_dx10_clamp 1
		.amdhsa_ieee_mode 1
		.amdhsa_fp16_overflow 0
		.amdhsa_workgroup_processor_mode 1
		.amdhsa_memory_ordered 1
		.amdhsa_forward_progress 0
		.amdhsa_shared_vgpr_count 0
		.amdhsa_exception_fp_ieee_invalid_op 0
		.amdhsa_exception_fp_denorm_src 0
		.amdhsa_exception_fp_ieee_div_zero 0
		.amdhsa_exception_fp_ieee_overflow 0
		.amdhsa_exception_fp_ieee_underflow 0
		.amdhsa_exception_fp_ieee_inexact 0
		.amdhsa_exception_int_div_zero 0
	.end_amdhsa_kernel
	.section	.text._ZN9rocsparseL23csr2csr_compress_kernelILi1024ELi512ELi2ELi64EfEEvii21rocsparse_index_base_PKT3_PKiS6_iS1_PS2_S6_PiNS_24const_host_device_scalarIS2_EEb,"axG",@progbits,_ZN9rocsparseL23csr2csr_compress_kernelILi1024ELi512ELi2ELi64EfEEvii21rocsparse_index_base_PKT3_PKiS6_iS1_PS2_S6_PiNS_24const_host_device_scalarIS2_EEb,comdat
.Lfunc_end7:
	.size	_ZN9rocsparseL23csr2csr_compress_kernelILi1024ELi512ELi2ELi64EfEEvii21rocsparse_index_base_PKT3_PKiS6_iS1_PS2_S6_PiNS_24const_host_device_scalarIS2_EEb, .Lfunc_end7-_ZN9rocsparseL23csr2csr_compress_kernelILi1024ELi512ELi2ELi64EfEEvii21rocsparse_index_base_PKT3_PKiS6_iS1_PS2_S6_PiNS_24const_host_device_scalarIS2_EEb
                                        ; -- End function
	.section	.AMDGPU.csdata,"",@progbits
; Kernel info:
; codeLenInByte = 628
; NumSgprs: 18
; NumVgprs: 12
; ScratchSize: 0
; MemoryBound: 0
; FloatMode: 240
; IeeeMode: 1
; LDSByteSize: 0 bytes/workgroup (compile time only)
; SGPRBlocks: 2
; VGPRBlocks: 1
; NumSGPRsForWavesPerEU: 18
; NumVGPRsForWavesPerEU: 12
; Occupancy: 16
; WaveLimiterHint : 0
; COMPUTE_PGM_RSRC2:SCRATCH_EN: 0
; COMPUTE_PGM_RSRC2:USER_SGPR: 15
; COMPUTE_PGM_RSRC2:TRAP_HANDLER: 0
; COMPUTE_PGM_RSRC2:TGID_X_EN: 1
; COMPUTE_PGM_RSRC2:TGID_Y_EN: 0
; COMPUTE_PGM_RSRC2:TGID_Z_EN: 0
; COMPUTE_PGM_RSRC2:TIDIG_COMP_CNT: 0
	.section	.text._ZN9rocsparseL23csr2csr_compress_kernelILi1024ELi256ELi4ELi64EfEEvii21rocsparse_index_base_PKT3_PKiS6_iS1_PS2_S6_PiNS_24const_host_device_scalarIS2_EEb,"axG",@progbits,_ZN9rocsparseL23csr2csr_compress_kernelILi1024ELi256ELi4ELi64EfEEvii21rocsparse_index_base_PKT3_PKiS6_iS1_PS2_S6_PiNS_24const_host_device_scalarIS2_EEb,comdat
	.globl	_ZN9rocsparseL23csr2csr_compress_kernelILi1024ELi256ELi4ELi64EfEEvii21rocsparse_index_base_PKT3_PKiS6_iS1_PS2_S6_PiNS_24const_host_device_scalarIS2_EEb ; -- Begin function _ZN9rocsparseL23csr2csr_compress_kernelILi1024ELi256ELi4ELi64EfEEvii21rocsparse_index_base_PKT3_PKiS6_iS1_PS2_S6_PiNS_24const_host_device_scalarIS2_EEb
	.p2align	8
	.type	_ZN9rocsparseL23csr2csr_compress_kernelILi1024ELi256ELi4ELi64EfEEvii21rocsparse_index_base_PKT3_PKiS6_iS1_PS2_S6_PiNS_24const_host_device_scalarIS2_EEb,@function
_ZN9rocsparseL23csr2csr_compress_kernelILi1024ELi256ELi4ELi64EfEEvii21rocsparse_index_base_PKT3_PKiS6_iS1_PS2_S6_PiNS_24const_host_device_scalarIS2_EEb: ; @_ZN9rocsparseL23csr2csr_compress_kernelILi1024ELi256ELi4ELi64EfEEvii21rocsparse_index_base_PKT3_PKiS6_iS1_PS2_S6_PiNS_24const_host_device_scalarIS2_EEb
; %bb.0:
	s_clause 0x1
	s_load_b32 s4, s[0:1], 0x50
	s_load_b64 s[2:3], s[0:1], 0x48
	s_waitcnt lgkmcnt(0)
	s_bitcmp1_b32 s4, 0
	s_cselect_b32 s4, -1, 0
	s_delay_alu instid0(SALU_CYCLE_1)
	s_and_b32 vcc_lo, exec_lo, s4
	s_cbranch_vccnz .LBB8_2
; %bb.1:
	s_load_b32 s2, s[2:3], 0x0
.LBB8_2:
	s_load_b32 s3, s[0:1], 0x0
	v_lshrrev_b32_e32 v1, 2, v0
	s_delay_alu instid0(VALU_DEP_1) | instskip(SKIP_1) | instid1(VALU_DEP_1)
	v_lshl_or_b32 v1, s15, 8, v1
	s_waitcnt lgkmcnt(0)
	v_cmp_gt_i32_e32 vcc_lo, s3, v1
	s_and_saveexec_b32 s3, vcc_lo
	s_cbranch_execz .LBB8_8
; %bb.3:
	s_clause 0x1
	s_load_b64 s[4:5], s[0:1], 0x18
	s_load_b32 s3, s[0:1], 0x8
	v_ashrrev_i32_e32 v2, 31, v1
	s_delay_alu instid0(VALU_DEP_1) | instskip(SKIP_1) | instid1(VALU_DEP_1)
	v_lshlrev_b64 v[2:3], 2, v[1:2]
	s_waitcnt lgkmcnt(0)
	v_add_co_u32 v4, vcc_lo, s4, v2
	s_delay_alu instid0(VALU_DEP_2) | instskip(SKIP_2) | instid1(VALU_DEP_1)
	v_add_co_ci_u32_e32 v5, vcc_lo, s5, v3, vcc_lo
	global_load_b64 v[5:6], v[4:5], off
	v_and_b32_e32 v4, 3, v0
	v_subrev_nc_u32_e32 v1, s3, v4
	s_waitcnt vmcnt(0)
	v_subrev_nc_u32_e32 v6, s3, v6
	s_delay_alu instid0(VALU_DEP_2) | instskip(NEXT) | instid1(VALU_DEP_1)
	v_add_nc_u32_e32 v1, v5, v1
	v_cmp_lt_i32_e32 vcc_lo, v1, v6
	s_and_b32 exec_lo, exec_lo, vcc_lo
	s_cbranch_execz .LBB8_8
; %bb.4:
	s_clause 0x1
	s_load_b128 s[8:11], s[0:1], 0x30
	s_load_b64 s[12:13], s[0:1], 0x40
	v_and_b32_e32 v7, 60, v0
	s_waitcnt lgkmcnt(0)
	v_add_co_u32 v2, vcc_lo, s10, v2
	v_add_co_ci_u32_e32 v3, vcc_lo, s11, v3, vcc_lo
	global_load_b32 v5, v[2:3], off
	s_clause 0x2
	s_load_b32 s10, s[0:1], 0x2c
	s_load_b64 s[4:5], s[0:1], 0x10
	s_load_b64 s[6:7], s[0:1], 0x20
	v_xor_b32_e32 v2, 63, v4
	v_mbcnt_lo_u32_b32 v4, -1, 0
	s_mov_b32 s1, 0
	s_delay_alu instid0(VALU_DEP_2) | instskip(NEXT) | instid1(VALU_DEP_2)
	v_lshrrev_b64 v[2:3], v2, -1
	v_lshl_or_b32 v0, v4, 2, 12
	s_delay_alu instid0(VALU_DEP_2)
	v_lshlrev_b64 v[3:4], v7, v[2:3]
	s_waitcnt lgkmcnt(0)
	s_sub_i32 s3, s10, s3
	s_add_u32 s8, s8, -4
	s_addc_u32 s9, s9, -1
	s_waitcnt vmcnt(0)
	v_subrev_nc_u32_e32 v7, s10, v5
	s_add_u32 s10, s12, -4
	s_addc_u32 s11, s13, -1
	s_branch .LBB8_6
.LBB8_5:                                ;   in Loop: Header=BB8_6 Depth=1
	s_or_b32 exec_lo, exec_lo, s0
	ds_bpermute_b32 v2, v0, v8
	v_add_nc_u32_e32 v1, 4, v1
	s_delay_alu instid0(VALU_DEP_1)
	v_cmp_ge_i32_e32 vcc_lo, v1, v6
	s_or_b32 s1, vcc_lo, s1
	s_waitcnt lgkmcnt(0)
	v_add_nc_u32_e32 v7, v2, v7
	s_and_not1_b32 exec_lo, exec_lo, s1
	s_cbranch_execz .LBB8_8
.LBB8_6:                                ; =>This Inner Loop Header: Depth=1
	v_ashrrev_i32_e32 v2, 31, v1
	s_delay_alu instid0(VALU_DEP_1) | instskip(NEXT) | instid1(VALU_DEP_1)
	v_lshlrev_b64 v[4:5], 2, v[1:2]
	v_add_co_u32 v8, vcc_lo, s4, v4
	s_delay_alu instid0(VALU_DEP_2) | instskip(SKIP_4) | instid1(VALU_DEP_1)
	v_add_co_ci_u32_e32 v9, vcc_lo, s5, v5, vcc_lo
	global_load_b32 v2, v[8:9], off
	s_waitcnt vmcnt(0)
	v_cmp_gt_f32_e32 vcc_lo, 0, v2
	v_cndmask_b32_e64 v8, v2, -v2, vcc_lo
	v_cmp_lt_f32_e32 vcc_lo, s2, v8
	v_cmp_lt_f32_e64 s0, 0x800000, v8
	s_delay_alu instid0(VALU_DEP_1) | instskip(NEXT) | instid1(SALU_CYCLE_1)
	s_and_b32 s12, vcc_lo, s0
	v_cndmask_b32_e64 v8, 0, 1, s12
	s_delay_alu instid0(VALU_DEP_1) | instskip(SKIP_1) | instid1(VALU_DEP_1)
	v_cmp_ne_u32_e32 vcc_lo, 0, v8
	v_and_b32_e32 v8, vcc_lo, v3
	v_bcnt_u32_b32 v8, v8, 0
	s_and_saveexec_b32 s0, s12
	s_cbranch_execz .LBB8_5
; %bb.7:                                ;   in Loop: Header=BB8_6 Depth=1
	v_add_co_u32 v4, vcc_lo, s6, v4
	v_add_co_ci_u32_e32 v5, vcc_lo, s7, v5, vcc_lo
	global_load_b32 v11, v[4:5], off
	v_ashrrev_i32_e32 v5, 31, v7
	v_add_co_u32 v4, vcc_lo, v7, v8
	s_delay_alu instid0(VALU_DEP_2) | instskip(NEXT) | instid1(VALU_DEP_1)
	v_add_co_ci_u32_e32 v5, vcc_lo, 0, v5, vcc_lo
	v_lshlrev_b64 v[4:5], 2, v[4:5]
	s_delay_alu instid0(VALU_DEP_1) | instskip(NEXT) | instid1(VALU_DEP_2)
	v_add_co_u32 v9, vcc_lo, s8, v4
	v_add_co_ci_u32_e32 v10, vcc_lo, s9, v5, vcc_lo
	v_add_co_u32 v4, vcc_lo, s10, v4
	v_add_co_ci_u32_e32 v5, vcc_lo, s11, v5, vcc_lo
	s_waitcnt vmcnt(0)
	v_add_nc_u32_e32 v11, s3, v11
	global_store_b32 v[9:10], v2, off
	global_store_b32 v[4:5], v11, off
	s_branch .LBB8_5
.LBB8_8:
	s_nop 0
	s_sendmsg sendmsg(MSG_DEALLOC_VGPRS)
	s_endpgm
	.section	.rodata,"a",@progbits
	.p2align	6, 0x0
	.amdhsa_kernel _ZN9rocsparseL23csr2csr_compress_kernelILi1024ELi256ELi4ELi64EfEEvii21rocsparse_index_base_PKT3_PKiS6_iS1_PS2_S6_PiNS_24const_host_device_scalarIS2_EEb
		.amdhsa_group_segment_fixed_size 0
		.amdhsa_private_segment_fixed_size 0
		.amdhsa_kernarg_size 84
		.amdhsa_user_sgpr_count 15
		.amdhsa_user_sgpr_dispatch_ptr 0
		.amdhsa_user_sgpr_queue_ptr 0
		.amdhsa_user_sgpr_kernarg_segment_ptr 1
		.amdhsa_user_sgpr_dispatch_id 0
		.amdhsa_user_sgpr_private_segment_size 0
		.amdhsa_wavefront_size32 1
		.amdhsa_uses_dynamic_stack 0
		.amdhsa_enable_private_segment 0
		.amdhsa_system_sgpr_workgroup_id_x 1
		.amdhsa_system_sgpr_workgroup_id_y 0
		.amdhsa_system_sgpr_workgroup_id_z 0
		.amdhsa_system_sgpr_workgroup_info 0
		.amdhsa_system_vgpr_workitem_id 0
		.amdhsa_next_free_vgpr 12
		.amdhsa_next_free_sgpr 16
		.amdhsa_reserve_vcc 1
		.amdhsa_float_round_mode_32 0
		.amdhsa_float_round_mode_16_64 0
		.amdhsa_float_denorm_mode_32 3
		.amdhsa_float_denorm_mode_16_64 3
		.amdhsa_dx10_clamp 1
		.amdhsa_ieee_mode 1
		.amdhsa_fp16_overflow 0
		.amdhsa_workgroup_processor_mode 1
		.amdhsa_memory_ordered 1
		.amdhsa_forward_progress 0
		.amdhsa_shared_vgpr_count 0
		.amdhsa_exception_fp_ieee_invalid_op 0
		.amdhsa_exception_fp_denorm_src 0
		.amdhsa_exception_fp_ieee_div_zero 0
		.amdhsa_exception_fp_ieee_overflow 0
		.amdhsa_exception_fp_ieee_underflow 0
		.amdhsa_exception_fp_ieee_inexact 0
		.amdhsa_exception_int_div_zero 0
	.end_amdhsa_kernel
	.section	.text._ZN9rocsparseL23csr2csr_compress_kernelILi1024ELi256ELi4ELi64EfEEvii21rocsparse_index_base_PKT3_PKiS6_iS1_PS2_S6_PiNS_24const_host_device_scalarIS2_EEb,"axG",@progbits,_ZN9rocsparseL23csr2csr_compress_kernelILi1024ELi256ELi4ELi64EfEEvii21rocsparse_index_base_PKT3_PKiS6_iS1_PS2_S6_PiNS_24const_host_device_scalarIS2_EEb,comdat
.Lfunc_end8:
	.size	_ZN9rocsparseL23csr2csr_compress_kernelILi1024ELi256ELi4ELi64EfEEvii21rocsparse_index_base_PKT3_PKiS6_iS1_PS2_S6_PiNS_24const_host_device_scalarIS2_EEb, .Lfunc_end8-_ZN9rocsparseL23csr2csr_compress_kernelILi1024ELi256ELi4ELi64EfEEvii21rocsparse_index_base_PKT3_PKiS6_iS1_PS2_S6_PiNS_24const_host_device_scalarIS2_EEb
                                        ; -- End function
	.section	.AMDGPU.csdata,"",@progbits
; Kernel info:
; codeLenInByte = 628
; NumSgprs: 18
; NumVgprs: 12
; ScratchSize: 0
; MemoryBound: 0
; FloatMode: 240
; IeeeMode: 1
; LDSByteSize: 0 bytes/workgroup (compile time only)
; SGPRBlocks: 2
; VGPRBlocks: 1
; NumSGPRsForWavesPerEU: 18
; NumVGPRsForWavesPerEU: 12
; Occupancy: 16
; WaveLimiterHint : 0
; COMPUTE_PGM_RSRC2:SCRATCH_EN: 0
; COMPUTE_PGM_RSRC2:USER_SGPR: 15
; COMPUTE_PGM_RSRC2:TRAP_HANDLER: 0
; COMPUTE_PGM_RSRC2:TGID_X_EN: 1
; COMPUTE_PGM_RSRC2:TGID_Y_EN: 0
; COMPUTE_PGM_RSRC2:TGID_Z_EN: 0
; COMPUTE_PGM_RSRC2:TIDIG_COMP_CNT: 0
	.section	.text._ZN9rocsparseL23csr2csr_compress_kernelILi1024ELi128ELi8ELi64EfEEvii21rocsparse_index_base_PKT3_PKiS6_iS1_PS2_S6_PiNS_24const_host_device_scalarIS2_EEb,"axG",@progbits,_ZN9rocsparseL23csr2csr_compress_kernelILi1024ELi128ELi8ELi64EfEEvii21rocsparse_index_base_PKT3_PKiS6_iS1_PS2_S6_PiNS_24const_host_device_scalarIS2_EEb,comdat
	.globl	_ZN9rocsparseL23csr2csr_compress_kernelILi1024ELi128ELi8ELi64EfEEvii21rocsparse_index_base_PKT3_PKiS6_iS1_PS2_S6_PiNS_24const_host_device_scalarIS2_EEb ; -- Begin function _ZN9rocsparseL23csr2csr_compress_kernelILi1024ELi128ELi8ELi64EfEEvii21rocsparse_index_base_PKT3_PKiS6_iS1_PS2_S6_PiNS_24const_host_device_scalarIS2_EEb
	.p2align	8
	.type	_ZN9rocsparseL23csr2csr_compress_kernelILi1024ELi128ELi8ELi64EfEEvii21rocsparse_index_base_PKT3_PKiS6_iS1_PS2_S6_PiNS_24const_host_device_scalarIS2_EEb,@function
_ZN9rocsparseL23csr2csr_compress_kernelILi1024ELi128ELi8ELi64EfEEvii21rocsparse_index_base_PKT3_PKiS6_iS1_PS2_S6_PiNS_24const_host_device_scalarIS2_EEb: ; @_ZN9rocsparseL23csr2csr_compress_kernelILi1024ELi128ELi8ELi64EfEEvii21rocsparse_index_base_PKT3_PKiS6_iS1_PS2_S6_PiNS_24const_host_device_scalarIS2_EEb
; %bb.0:
	s_clause 0x1
	s_load_b32 s4, s[0:1], 0x50
	s_load_b64 s[2:3], s[0:1], 0x48
	s_waitcnt lgkmcnt(0)
	s_bitcmp1_b32 s4, 0
	s_cselect_b32 s4, -1, 0
	s_delay_alu instid0(SALU_CYCLE_1)
	s_and_b32 vcc_lo, exec_lo, s4
	s_cbranch_vccnz .LBB9_2
; %bb.1:
	s_load_b32 s2, s[2:3], 0x0
.LBB9_2:
	s_load_b32 s3, s[0:1], 0x0
	v_lshrrev_b32_e32 v1, 3, v0
	s_delay_alu instid0(VALU_DEP_1) | instskip(SKIP_1) | instid1(VALU_DEP_1)
	v_lshl_or_b32 v1, s15, 7, v1
	s_waitcnt lgkmcnt(0)
	v_cmp_gt_i32_e32 vcc_lo, s3, v1
	s_and_saveexec_b32 s3, vcc_lo
	s_cbranch_execz .LBB9_8
; %bb.3:
	s_clause 0x1
	s_load_b64 s[4:5], s[0:1], 0x18
	s_load_b32 s3, s[0:1], 0x8
	v_ashrrev_i32_e32 v2, 31, v1
	s_delay_alu instid0(VALU_DEP_1) | instskip(SKIP_1) | instid1(VALU_DEP_1)
	v_lshlrev_b64 v[2:3], 2, v[1:2]
	s_waitcnt lgkmcnt(0)
	v_add_co_u32 v4, vcc_lo, s4, v2
	s_delay_alu instid0(VALU_DEP_2) | instskip(SKIP_2) | instid1(VALU_DEP_1)
	v_add_co_ci_u32_e32 v5, vcc_lo, s5, v3, vcc_lo
	global_load_b64 v[5:6], v[4:5], off
	v_and_b32_e32 v4, 7, v0
	v_subrev_nc_u32_e32 v1, s3, v4
	s_waitcnt vmcnt(0)
	v_subrev_nc_u32_e32 v6, s3, v6
	s_delay_alu instid0(VALU_DEP_2) | instskip(NEXT) | instid1(VALU_DEP_1)
	v_add_nc_u32_e32 v1, v5, v1
	v_cmp_lt_i32_e32 vcc_lo, v1, v6
	s_and_b32 exec_lo, exec_lo, vcc_lo
	s_cbranch_execz .LBB9_8
; %bb.4:
	s_clause 0x1
	s_load_b128 s[8:11], s[0:1], 0x30
	s_load_b64 s[12:13], s[0:1], 0x40
	v_and_b32_e32 v7, 56, v0
	s_waitcnt lgkmcnt(0)
	v_add_co_u32 v2, vcc_lo, s10, v2
	v_add_co_ci_u32_e32 v3, vcc_lo, s11, v3, vcc_lo
	global_load_b32 v5, v[2:3], off
	s_clause 0x2
	s_load_b32 s10, s[0:1], 0x2c
	s_load_b64 s[4:5], s[0:1], 0x10
	s_load_b64 s[6:7], s[0:1], 0x20
	v_xor_b32_e32 v2, 63, v4
	v_mbcnt_lo_u32_b32 v4, -1, 0
	s_mov_b32 s1, 0
	s_delay_alu instid0(VALU_DEP_2) | instskip(NEXT) | instid1(VALU_DEP_2)
	v_lshrrev_b64 v[2:3], v2, -1
	v_lshl_or_b32 v0, v4, 2, 28
	s_delay_alu instid0(VALU_DEP_2)
	v_lshlrev_b64 v[3:4], v7, v[2:3]
	s_waitcnt lgkmcnt(0)
	s_sub_i32 s3, s10, s3
	s_add_u32 s8, s8, -4
	s_addc_u32 s9, s9, -1
	s_waitcnt vmcnt(0)
	v_subrev_nc_u32_e32 v7, s10, v5
	s_add_u32 s10, s12, -4
	s_addc_u32 s11, s13, -1
	s_branch .LBB9_6
.LBB9_5:                                ;   in Loop: Header=BB9_6 Depth=1
	s_or_b32 exec_lo, exec_lo, s0
	ds_bpermute_b32 v2, v0, v8
	v_add_nc_u32_e32 v1, 8, v1
	s_delay_alu instid0(VALU_DEP_1)
	v_cmp_ge_i32_e32 vcc_lo, v1, v6
	s_or_b32 s1, vcc_lo, s1
	s_waitcnt lgkmcnt(0)
	v_add_nc_u32_e32 v7, v2, v7
	s_and_not1_b32 exec_lo, exec_lo, s1
	s_cbranch_execz .LBB9_8
.LBB9_6:                                ; =>This Inner Loop Header: Depth=1
	v_ashrrev_i32_e32 v2, 31, v1
	s_delay_alu instid0(VALU_DEP_1) | instskip(NEXT) | instid1(VALU_DEP_1)
	v_lshlrev_b64 v[4:5], 2, v[1:2]
	v_add_co_u32 v8, vcc_lo, s4, v4
	s_delay_alu instid0(VALU_DEP_2) | instskip(SKIP_4) | instid1(VALU_DEP_1)
	v_add_co_ci_u32_e32 v9, vcc_lo, s5, v5, vcc_lo
	global_load_b32 v2, v[8:9], off
	s_waitcnt vmcnt(0)
	v_cmp_gt_f32_e32 vcc_lo, 0, v2
	v_cndmask_b32_e64 v8, v2, -v2, vcc_lo
	v_cmp_lt_f32_e32 vcc_lo, s2, v8
	v_cmp_lt_f32_e64 s0, 0x800000, v8
	s_delay_alu instid0(VALU_DEP_1) | instskip(NEXT) | instid1(SALU_CYCLE_1)
	s_and_b32 s12, vcc_lo, s0
	v_cndmask_b32_e64 v8, 0, 1, s12
	s_delay_alu instid0(VALU_DEP_1) | instskip(SKIP_1) | instid1(VALU_DEP_1)
	v_cmp_ne_u32_e32 vcc_lo, 0, v8
	v_and_b32_e32 v8, vcc_lo, v3
	v_bcnt_u32_b32 v8, v8, 0
	s_and_saveexec_b32 s0, s12
	s_cbranch_execz .LBB9_5
; %bb.7:                                ;   in Loop: Header=BB9_6 Depth=1
	v_add_co_u32 v4, vcc_lo, s6, v4
	v_add_co_ci_u32_e32 v5, vcc_lo, s7, v5, vcc_lo
	global_load_b32 v11, v[4:5], off
	v_ashrrev_i32_e32 v5, 31, v7
	v_add_co_u32 v4, vcc_lo, v7, v8
	s_delay_alu instid0(VALU_DEP_2) | instskip(NEXT) | instid1(VALU_DEP_1)
	v_add_co_ci_u32_e32 v5, vcc_lo, 0, v5, vcc_lo
	v_lshlrev_b64 v[4:5], 2, v[4:5]
	s_delay_alu instid0(VALU_DEP_1) | instskip(NEXT) | instid1(VALU_DEP_2)
	v_add_co_u32 v9, vcc_lo, s8, v4
	v_add_co_ci_u32_e32 v10, vcc_lo, s9, v5, vcc_lo
	v_add_co_u32 v4, vcc_lo, s10, v4
	v_add_co_ci_u32_e32 v5, vcc_lo, s11, v5, vcc_lo
	s_waitcnt vmcnt(0)
	v_add_nc_u32_e32 v11, s3, v11
	global_store_b32 v[9:10], v2, off
	global_store_b32 v[4:5], v11, off
	s_branch .LBB9_5
.LBB9_8:
	s_nop 0
	s_sendmsg sendmsg(MSG_DEALLOC_VGPRS)
	s_endpgm
	.section	.rodata,"a",@progbits
	.p2align	6, 0x0
	.amdhsa_kernel _ZN9rocsparseL23csr2csr_compress_kernelILi1024ELi128ELi8ELi64EfEEvii21rocsparse_index_base_PKT3_PKiS6_iS1_PS2_S6_PiNS_24const_host_device_scalarIS2_EEb
		.amdhsa_group_segment_fixed_size 0
		.amdhsa_private_segment_fixed_size 0
		.amdhsa_kernarg_size 84
		.amdhsa_user_sgpr_count 15
		.amdhsa_user_sgpr_dispatch_ptr 0
		.amdhsa_user_sgpr_queue_ptr 0
		.amdhsa_user_sgpr_kernarg_segment_ptr 1
		.amdhsa_user_sgpr_dispatch_id 0
		.amdhsa_user_sgpr_private_segment_size 0
		.amdhsa_wavefront_size32 1
		.amdhsa_uses_dynamic_stack 0
		.amdhsa_enable_private_segment 0
		.amdhsa_system_sgpr_workgroup_id_x 1
		.amdhsa_system_sgpr_workgroup_id_y 0
		.amdhsa_system_sgpr_workgroup_id_z 0
		.amdhsa_system_sgpr_workgroup_info 0
		.amdhsa_system_vgpr_workitem_id 0
		.amdhsa_next_free_vgpr 12
		.amdhsa_next_free_sgpr 16
		.amdhsa_reserve_vcc 1
		.amdhsa_float_round_mode_32 0
		.amdhsa_float_round_mode_16_64 0
		.amdhsa_float_denorm_mode_32 3
		.amdhsa_float_denorm_mode_16_64 3
		.amdhsa_dx10_clamp 1
		.amdhsa_ieee_mode 1
		.amdhsa_fp16_overflow 0
		.amdhsa_workgroup_processor_mode 1
		.amdhsa_memory_ordered 1
		.amdhsa_forward_progress 0
		.amdhsa_shared_vgpr_count 0
		.amdhsa_exception_fp_ieee_invalid_op 0
		.amdhsa_exception_fp_denorm_src 0
		.amdhsa_exception_fp_ieee_div_zero 0
		.amdhsa_exception_fp_ieee_overflow 0
		.amdhsa_exception_fp_ieee_underflow 0
		.amdhsa_exception_fp_ieee_inexact 0
		.amdhsa_exception_int_div_zero 0
	.end_amdhsa_kernel
	.section	.text._ZN9rocsparseL23csr2csr_compress_kernelILi1024ELi128ELi8ELi64EfEEvii21rocsparse_index_base_PKT3_PKiS6_iS1_PS2_S6_PiNS_24const_host_device_scalarIS2_EEb,"axG",@progbits,_ZN9rocsparseL23csr2csr_compress_kernelILi1024ELi128ELi8ELi64EfEEvii21rocsparse_index_base_PKT3_PKiS6_iS1_PS2_S6_PiNS_24const_host_device_scalarIS2_EEb,comdat
.Lfunc_end9:
	.size	_ZN9rocsparseL23csr2csr_compress_kernelILi1024ELi128ELi8ELi64EfEEvii21rocsparse_index_base_PKT3_PKiS6_iS1_PS2_S6_PiNS_24const_host_device_scalarIS2_EEb, .Lfunc_end9-_ZN9rocsparseL23csr2csr_compress_kernelILi1024ELi128ELi8ELi64EfEEvii21rocsparse_index_base_PKT3_PKiS6_iS1_PS2_S6_PiNS_24const_host_device_scalarIS2_EEb
                                        ; -- End function
	.section	.AMDGPU.csdata,"",@progbits
; Kernel info:
; codeLenInByte = 628
; NumSgprs: 18
; NumVgprs: 12
; ScratchSize: 0
; MemoryBound: 0
; FloatMode: 240
; IeeeMode: 1
; LDSByteSize: 0 bytes/workgroup (compile time only)
; SGPRBlocks: 2
; VGPRBlocks: 1
; NumSGPRsForWavesPerEU: 18
; NumVGPRsForWavesPerEU: 12
; Occupancy: 16
; WaveLimiterHint : 0
; COMPUTE_PGM_RSRC2:SCRATCH_EN: 0
; COMPUTE_PGM_RSRC2:USER_SGPR: 15
; COMPUTE_PGM_RSRC2:TRAP_HANDLER: 0
; COMPUTE_PGM_RSRC2:TGID_X_EN: 1
; COMPUTE_PGM_RSRC2:TGID_Y_EN: 0
; COMPUTE_PGM_RSRC2:TGID_Z_EN: 0
; COMPUTE_PGM_RSRC2:TIDIG_COMP_CNT: 0
	.section	.text._ZN9rocsparseL23csr2csr_compress_kernelILi1024ELi64ELi16ELi64EfEEvii21rocsparse_index_base_PKT3_PKiS6_iS1_PS2_S6_PiNS_24const_host_device_scalarIS2_EEb,"axG",@progbits,_ZN9rocsparseL23csr2csr_compress_kernelILi1024ELi64ELi16ELi64EfEEvii21rocsparse_index_base_PKT3_PKiS6_iS1_PS2_S6_PiNS_24const_host_device_scalarIS2_EEb,comdat
	.globl	_ZN9rocsparseL23csr2csr_compress_kernelILi1024ELi64ELi16ELi64EfEEvii21rocsparse_index_base_PKT3_PKiS6_iS1_PS2_S6_PiNS_24const_host_device_scalarIS2_EEb ; -- Begin function _ZN9rocsparseL23csr2csr_compress_kernelILi1024ELi64ELi16ELi64EfEEvii21rocsparse_index_base_PKT3_PKiS6_iS1_PS2_S6_PiNS_24const_host_device_scalarIS2_EEb
	.p2align	8
	.type	_ZN9rocsparseL23csr2csr_compress_kernelILi1024ELi64ELi16ELi64EfEEvii21rocsparse_index_base_PKT3_PKiS6_iS1_PS2_S6_PiNS_24const_host_device_scalarIS2_EEb,@function
_ZN9rocsparseL23csr2csr_compress_kernelILi1024ELi64ELi16ELi64EfEEvii21rocsparse_index_base_PKT3_PKiS6_iS1_PS2_S6_PiNS_24const_host_device_scalarIS2_EEb: ; @_ZN9rocsparseL23csr2csr_compress_kernelILi1024ELi64ELi16ELi64EfEEvii21rocsparse_index_base_PKT3_PKiS6_iS1_PS2_S6_PiNS_24const_host_device_scalarIS2_EEb
; %bb.0:
	s_clause 0x1
	s_load_b32 s4, s[0:1], 0x50
	s_load_b64 s[2:3], s[0:1], 0x48
	s_waitcnt lgkmcnt(0)
	s_bitcmp1_b32 s4, 0
	s_cselect_b32 s4, -1, 0
	s_delay_alu instid0(SALU_CYCLE_1)
	s_and_b32 vcc_lo, exec_lo, s4
	s_cbranch_vccnz .LBB10_2
; %bb.1:
	s_load_b32 s2, s[2:3], 0x0
.LBB10_2:
	s_load_b32 s3, s[0:1], 0x0
	v_lshrrev_b32_e32 v1, 4, v0
	s_delay_alu instid0(VALU_DEP_1) | instskip(SKIP_1) | instid1(VALU_DEP_1)
	v_lshl_or_b32 v1, s15, 6, v1
	s_waitcnt lgkmcnt(0)
	v_cmp_gt_i32_e32 vcc_lo, s3, v1
	s_and_saveexec_b32 s3, vcc_lo
	s_cbranch_execz .LBB10_8
; %bb.3:
	s_clause 0x1
	s_load_b64 s[4:5], s[0:1], 0x18
	s_load_b32 s3, s[0:1], 0x8
	v_ashrrev_i32_e32 v2, 31, v1
	s_delay_alu instid0(VALU_DEP_1) | instskip(SKIP_1) | instid1(VALU_DEP_1)
	v_lshlrev_b64 v[2:3], 2, v[1:2]
	s_waitcnt lgkmcnt(0)
	v_add_co_u32 v4, vcc_lo, s4, v2
	s_delay_alu instid0(VALU_DEP_2) | instskip(SKIP_2) | instid1(VALU_DEP_1)
	v_add_co_ci_u32_e32 v5, vcc_lo, s5, v3, vcc_lo
	global_load_b64 v[5:6], v[4:5], off
	v_and_b32_e32 v4, 15, v0
	v_subrev_nc_u32_e32 v1, s3, v4
	s_waitcnt vmcnt(0)
	v_subrev_nc_u32_e32 v6, s3, v6
	s_delay_alu instid0(VALU_DEP_2) | instskip(NEXT) | instid1(VALU_DEP_1)
	v_add_nc_u32_e32 v1, v5, v1
	v_cmp_lt_i32_e32 vcc_lo, v1, v6
	s_and_b32 exec_lo, exec_lo, vcc_lo
	s_cbranch_execz .LBB10_8
; %bb.4:
	s_clause 0x1
	s_load_b128 s[8:11], s[0:1], 0x30
	s_load_b64 s[12:13], s[0:1], 0x40
	v_and_b32_e32 v7, 48, v0
	s_waitcnt lgkmcnt(0)
	v_add_co_u32 v2, vcc_lo, s10, v2
	v_add_co_ci_u32_e32 v3, vcc_lo, s11, v3, vcc_lo
	global_load_b32 v5, v[2:3], off
	s_clause 0x2
	s_load_b32 s10, s[0:1], 0x2c
	s_load_b64 s[4:5], s[0:1], 0x10
	s_load_b64 s[6:7], s[0:1], 0x20
	v_xor_b32_e32 v2, 63, v4
	v_mbcnt_lo_u32_b32 v4, -1, 0
	s_mov_b32 s1, 0
	s_delay_alu instid0(VALU_DEP_2) | instskip(NEXT) | instid1(VALU_DEP_2)
	v_lshrrev_b64 v[2:3], v2, -1
	v_lshl_or_b32 v0, v4, 2, 60
	s_delay_alu instid0(VALU_DEP_2)
	v_lshlrev_b64 v[3:4], v7, v[2:3]
	s_waitcnt lgkmcnt(0)
	s_sub_i32 s3, s10, s3
	s_add_u32 s8, s8, -4
	s_addc_u32 s9, s9, -1
	s_waitcnt vmcnt(0)
	v_subrev_nc_u32_e32 v7, s10, v5
	s_add_u32 s10, s12, -4
	s_addc_u32 s11, s13, -1
	s_branch .LBB10_6
.LBB10_5:                               ;   in Loop: Header=BB10_6 Depth=1
	s_or_b32 exec_lo, exec_lo, s0
	ds_bpermute_b32 v2, v0, v8
	v_add_nc_u32_e32 v1, 16, v1
	s_delay_alu instid0(VALU_DEP_1)
	v_cmp_ge_i32_e32 vcc_lo, v1, v6
	s_or_b32 s1, vcc_lo, s1
	s_waitcnt lgkmcnt(0)
	v_add_nc_u32_e32 v7, v2, v7
	s_and_not1_b32 exec_lo, exec_lo, s1
	s_cbranch_execz .LBB10_8
.LBB10_6:                               ; =>This Inner Loop Header: Depth=1
	v_ashrrev_i32_e32 v2, 31, v1
	s_delay_alu instid0(VALU_DEP_1) | instskip(NEXT) | instid1(VALU_DEP_1)
	v_lshlrev_b64 v[4:5], 2, v[1:2]
	v_add_co_u32 v8, vcc_lo, s4, v4
	s_delay_alu instid0(VALU_DEP_2) | instskip(SKIP_4) | instid1(VALU_DEP_1)
	v_add_co_ci_u32_e32 v9, vcc_lo, s5, v5, vcc_lo
	global_load_b32 v2, v[8:9], off
	s_waitcnt vmcnt(0)
	v_cmp_gt_f32_e32 vcc_lo, 0, v2
	v_cndmask_b32_e64 v8, v2, -v2, vcc_lo
	v_cmp_lt_f32_e32 vcc_lo, s2, v8
	v_cmp_lt_f32_e64 s0, 0x800000, v8
	s_delay_alu instid0(VALU_DEP_1) | instskip(NEXT) | instid1(SALU_CYCLE_1)
	s_and_b32 s12, vcc_lo, s0
	v_cndmask_b32_e64 v8, 0, 1, s12
	s_delay_alu instid0(VALU_DEP_1) | instskip(SKIP_1) | instid1(VALU_DEP_1)
	v_cmp_ne_u32_e32 vcc_lo, 0, v8
	v_and_b32_e32 v8, vcc_lo, v3
	v_bcnt_u32_b32 v8, v8, 0
	s_and_saveexec_b32 s0, s12
	s_cbranch_execz .LBB10_5
; %bb.7:                                ;   in Loop: Header=BB10_6 Depth=1
	v_add_co_u32 v4, vcc_lo, s6, v4
	v_add_co_ci_u32_e32 v5, vcc_lo, s7, v5, vcc_lo
	global_load_b32 v11, v[4:5], off
	v_ashrrev_i32_e32 v5, 31, v7
	v_add_co_u32 v4, vcc_lo, v7, v8
	s_delay_alu instid0(VALU_DEP_2) | instskip(NEXT) | instid1(VALU_DEP_1)
	v_add_co_ci_u32_e32 v5, vcc_lo, 0, v5, vcc_lo
	v_lshlrev_b64 v[4:5], 2, v[4:5]
	s_delay_alu instid0(VALU_DEP_1) | instskip(NEXT) | instid1(VALU_DEP_2)
	v_add_co_u32 v9, vcc_lo, s8, v4
	v_add_co_ci_u32_e32 v10, vcc_lo, s9, v5, vcc_lo
	v_add_co_u32 v4, vcc_lo, s10, v4
	v_add_co_ci_u32_e32 v5, vcc_lo, s11, v5, vcc_lo
	s_waitcnt vmcnt(0)
	v_add_nc_u32_e32 v11, s3, v11
	global_store_b32 v[9:10], v2, off
	global_store_b32 v[4:5], v11, off
	s_branch .LBB10_5
.LBB10_8:
	s_nop 0
	s_sendmsg sendmsg(MSG_DEALLOC_VGPRS)
	s_endpgm
	.section	.rodata,"a",@progbits
	.p2align	6, 0x0
	.amdhsa_kernel _ZN9rocsparseL23csr2csr_compress_kernelILi1024ELi64ELi16ELi64EfEEvii21rocsparse_index_base_PKT3_PKiS6_iS1_PS2_S6_PiNS_24const_host_device_scalarIS2_EEb
		.amdhsa_group_segment_fixed_size 0
		.amdhsa_private_segment_fixed_size 0
		.amdhsa_kernarg_size 84
		.amdhsa_user_sgpr_count 15
		.amdhsa_user_sgpr_dispatch_ptr 0
		.amdhsa_user_sgpr_queue_ptr 0
		.amdhsa_user_sgpr_kernarg_segment_ptr 1
		.amdhsa_user_sgpr_dispatch_id 0
		.amdhsa_user_sgpr_private_segment_size 0
		.amdhsa_wavefront_size32 1
		.amdhsa_uses_dynamic_stack 0
		.amdhsa_enable_private_segment 0
		.amdhsa_system_sgpr_workgroup_id_x 1
		.amdhsa_system_sgpr_workgroup_id_y 0
		.amdhsa_system_sgpr_workgroup_id_z 0
		.amdhsa_system_sgpr_workgroup_info 0
		.amdhsa_system_vgpr_workitem_id 0
		.amdhsa_next_free_vgpr 12
		.amdhsa_next_free_sgpr 16
		.amdhsa_reserve_vcc 1
		.amdhsa_float_round_mode_32 0
		.amdhsa_float_round_mode_16_64 0
		.amdhsa_float_denorm_mode_32 3
		.amdhsa_float_denorm_mode_16_64 3
		.amdhsa_dx10_clamp 1
		.amdhsa_ieee_mode 1
		.amdhsa_fp16_overflow 0
		.amdhsa_workgroup_processor_mode 1
		.amdhsa_memory_ordered 1
		.amdhsa_forward_progress 0
		.amdhsa_shared_vgpr_count 0
		.amdhsa_exception_fp_ieee_invalid_op 0
		.amdhsa_exception_fp_denorm_src 0
		.amdhsa_exception_fp_ieee_div_zero 0
		.amdhsa_exception_fp_ieee_overflow 0
		.amdhsa_exception_fp_ieee_underflow 0
		.amdhsa_exception_fp_ieee_inexact 0
		.amdhsa_exception_int_div_zero 0
	.end_amdhsa_kernel
	.section	.text._ZN9rocsparseL23csr2csr_compress_kernelILi1024ELi64ELi16ELi64EfEEvii21rocsparse_index_base_PKT3_PKiS6_iS1_PS2_S6_PiNS_24const_host_device_scalarIS2_EEb,"axG",@progbits,_ZN9rocsparseL23csr2csr_compress_kernelILi1024ELi64ELi16ELi64EfEEvii21rocsparse_index_base_PKT3_PKiS6_iS1_PS2_S6_PiNS_24const_host_device_scalarIS2_EEb,comdat
.Lfunc_end10:
	.size	_ZN9rocsparseL23csr2csr_compress_kernelILi1024ELi64ELi16ELi64EfEEvii21rocsparse_index_base_PKT3_PKiS6_iS1_PS2_S6_PiNS_24const_host_device_scalarIS2_EEb, .Lfunc_end10-_ZN9rocsparseL23csr2csr_compress_kernelILi1024ELi64ELi16ELi64EfEEvii21rocsparse_index_base_PKT3_PKiS6_iS1_PS2_S6_PiNS_24const_host_device_scalarIS2_EEb
                                        ; -- End function
	.section	.AMDGPU.csdata,"",@progbits
; Kernel info:
; codeLenInByte = 628
; NumSgprs: 18
; NumVgprs: 12
; ScratchSize: 0
; MemoryBound: 0
; FloatMode: 240
; IeeeMode: 1
; LDSByteSize: 0 bytes/workgroup (compile time only)
; SGPRBlocks: 2
; VGPRBlocks: 1
; NumSGPRsForWavesPerEU: 18
; NumVGPRsForWavesPerEU: 12
; Occupancy: 16
; WaveLimiterHint : 0
; COMPUTE_PGM_RSRC2:SCRATCH_EN: 0
; COMPUTE_PGM_RSRC2:USER_SGPR: 15
; COMPUTE_PGM_RSRC2:TRAP_HANDLER: 0
; COMPUTE_PGM_RSRC2:TGID_X_EN: 1
; COMPUTE_PGM_RSRC2:TGID_Y_EN: 0
; COMPUTE_PGM_RSRC2:TGID_Z_EN: 0
; COMPUTE_PGM_RSRC2:TIDIG_COMP_CNT: 0
	.section	.text._ZN9rocsparseL23csr2csr_compress_kernelILi1024ELi32ELi32ELi64EfEEvii21rocsparse_index_base_PKT3_PKiS6_iS1_PS2_S6_PiNS_24const_host_device_scalarIS2_EEb,"axG",@progbits,_ZN9rocsparseL23csr2csr_compress_kernelILi1024ELi32ELi32ELi64EfEEvii21rocsparse_index_base_PKT3_PKiS6_iS1_PS2_S6_PiNS_24const_host_device_scalarIS2_EEb,comdat
	.globl	_ZN9rocsparseL23csr2csr_compress_kernelILi1024ELi32ELi32ELi64EfEEvii21rocsparse_index_base_PKT3_PKiS6_iS1_PS2_S6_PiNS_24const_host_device_scalarIS2_EEb ; -- Begin function _ZN9rocsparseL23csr2csr_compress_kernelILi1024ELi32ELi32ELi64EfEEvii21rocsparse_index_base_PKT3_PKiS6_iS1_PS2_S6_PiNS_24const_host_device_scalarIS2_EEb
	.p2align	8
	.type	_ZN9rocsparseL23csr2csr_compress_kernelILi1024ELi32ELi32ELi64EfEEvii21rocsparse_index_base_PKT3_PKiS6_iS1_PS2_S6_PiNS_24const_host_device_scalarIS2_EEb,@function
_ZN9rocsparseL23csr2csr_compress_kernelILi1024ELi32ELi32ELi64EfEEvii21rocsparse_index_base_PKT3_PKiS6_iS1_PS2_S6_PiNS_24const_host_device_scalarIS2_EEb: ; @_ZN9rocsparseL23csr2csr_compress_kernelILi1024ELi32ELi32ELi64EfEEvii21rocsparse_index_base_PKT3_PKiS6_iS1_PS2_S6_PiNS_24const_host_device_scalarIS2_EEb
; %bb.0:
	s_clause 0x1
	s_load_b32 s4, s[0:1], 0x50
	s_load_b64 s[2:3], s[0:1], 0x48
	s_waitcnt lgkmcnt(0)
	s_bitcmp1_b32 s4, 0
	s_cselect_b32 s4, -1, 0
	s_delay_alu instid0(SALU_CYCLE_1)
	s_and_b32 vcc_lo, exec_lo, s4
	s_cbranch_vccnz .LBB11_2
; %bb.1:
	s_load_b32 s2, s[2:3], 0x0
.LBB11_2:
	s_load_b32 s3, s[0:1], 0x0
	v_lshrrev_b32_e32 v1, 5, v0
	s_delay_alu instid0(VALU_DEP_1) | instskip(SKIP_1) | instid1(VALU_DEP_1)
	v_lshl_or_b32 v1, s15, 5, v1
	s_waitcnt lgkmcnt(0)
	v_cmp_gt_i32_e32 vcc_lo, s3, v1
	s_and_saveexec_b32 s3, vcc_lo
	s_cbranch_execz .LBB11_8
; %bb.3:
	s_clause 0x1
	s_load_b64 s[4:5], s[0:1], 0x18
	s_load_b32 s3, s[0:1], 0x8
	v_ashrrev_i32_e32 v2, 31, v1
	s_delay_alu instid0(VALU_DEP_1) | instskip(SKIP_1) | instid1(VALU_DEP_1)
	v_lshlrev_b64 v[2:3], 2, v[1:2]
	s_waitcnt lgkmcnt(0)
	v_add_co_u32 v4, vcc_lo, s4, v2
	s_delay_alu instid0(VALU_DEP_2) | instskip(SKIP_2) | instid1(VALU_DEP_1)
	v_add_co_ci_u32_e32 v5, vcc_lo, s5, v3, vcc_lo
	global_load_b64 v[5:6], v[4:5], off
	v_and_b32_e32 v4, 31, v0
	v_subrev_nc_u32_e32 v1, s3, v4
	s_waitcnt vmcnt(0)
	v_subrev_nc_u32_e32 v6, s3, v6
	s_delay_alu instid0(VALU_DEP_2) | instskip(NEXT) | instid1(VALU_DEP_1)
	v_add_nc_u32_e32 v1, v5, v1
	v_cmp_lt_i32_e32 vcc_lo, v1, v6
	s_and_b32 exec_lo, exec_lo, vcc_lo
	s_cbranch_execz .LBB11_8
; %bb.4:
	s_clause 0x1
	s_load_b128 s[8:11], s[0:1], 0x30
	s_load_b64 s[12:13], s[0:1], 0x40
	s_waitcnt lgkmcnt(0)
	v_add_co_u32 v2, vcc_lo, s10, v2
	v_add_co_ci_u32_e32 v3, vcc_lo, s11, v3, vcc_lo
	s_mov_b32 s11, 0
	global_load_b32 v5, v[2:3], off
	s_clause 0x2
	s_load_b32 s10, s[0:1], 0x2c
	s_load_b64 s[4:5], s[0:1], 0x10
	s_load_b64 s[6:7], s[0:1], 0x20
	v_xor_b32_e32 v2, 63, v4
	v_and_b32_e32 v4, 32, v0
	v_mov_b32_e32 v0, 0x7c
	s_delay_alu instid0(VALU_DEP_3) | instskip(NEXT) | instid1(VALU_DEP_1)
	v_lshrrev_b64 v[2:3], v2, -1
	v_lshlrev_b64 v[3:4], v4, v[2:3]
	s_waitcnt lgkmcnt(0)
	s_sub_i32 s1, s10, s3
	s_add_u32 s3, s8, -4
	s_addc_u32 s8, s9, -1
	s_add_u32 s9, s12, -4
	s_waitcnt vmcnt(0)
	v_subrev_nc_u32_e32 v7, s10, v5
	s_addc_u32 s10, s13, -1
	s_branch .LBB11_6
.LBB11_5:                               ;   in Loop: Header=BB11_6 Depth=1
	s_or_b32 exec_lo, exec_lo, s0
	ds_bpermute_b32 v2, v0, v8
	v_add_nc_u32_e32 v1, 32, v1
	s_delay_alu instid0(VALU_DEP_1)
	v_cmp_ge_i32_e32 vcc_lo, v1, v6
	s_or_b32 s11, vcc_lo, s11
	s_waitcnt lgkmcnt(0)
	v_add_nc_u32_e32 v7, v2, v7
	s_and_not1_b32 exec_lo, exec_lo, s11
	s_cbranch_execz .LBB11_8
.LBB11_6:                               ; =>This Inner Loop Header: Depth=1
	v_ashrrev_i32_e32 v2, 31, v1
	s_delay_alu instid0(VALU_DEP_1) | instskip(NEXT) | instid1(VALU_DEP_1)
	v_lshlrev_b64 v[4:5], 2, v[1:2]
	v_add_co_u32 v8, vcc_lo, s4, v4
	s_delay_alu instid0(VALU_DEP_2) | instskip(SKIP_4) | instid1(VALU_DEP_1)
	v_add_co_ci_u32_e32 v9, vcc_lo, s5, v5, vcc_lo
	global_load_b32 v2, v[8:9], off
	s_waitcnt vmcnt(0)
	v_cmp_gt_f32_e32 vcc_lo, 0, v2
	v_cndmask_b32_e64 v8, v2, -v2, vcc_lo
	v_cmp_lt_f32_e32 vcc_lo, s2, v8
	v_cmp_lt_f32_e64 s0, 0x800000, v8
	s_delay_alu instid0(VALU_DEP_1) | instskip(NEXT) | instid1(SALU_CYCLE_1)
	s_and_b32 s12, vcc_lo, s0
	v_cndmask_b32_e64 v8, 0, 1, s12
	s_delay_alu instid0(VALU_DEP_1) | instskip(SKIP_1) | instid1(VALU_DEP_1)
	v_cmp_ne_u32_e32 vcc_lo, 0, v8
	v_and_b32_e32 v8, vcc_lo, v3
	v_bcnt_u32_b32 v8, v8, 0
	s_and_saveexec_b32 s0, s12
	s_cbranch_execz .LBB11_5
; %bb.7:                                ;   in Loop: Header=BB11_6 Depth=1
	v_add_co_u32 v4, vcc_lo, s6, v4
	v_add_co_ci_u32_e32 v5, vcc_lo, s7, v5, vcc_lo
	global_load_b32 v11, v[4:5], off
	v_ashrrev_i32_e32 v5, 31, v7
	v_add_co_u32 v4, vcc_lo, v7, v8
	s_delay_alu instid0(VALU_DEP_2) | instskip(NEXT) | instid1(VALU_DEP_1)
	v_add_co_ci_u32_e32 v5, vcc_lo, 0, v5, vcc_lo
	v_lshlrev_b64 v[4:5], 2, v[4:5]
	s_delay_alu instid0(VALU_DEP_1) | instskip(NEXT) | instid1(VALU_DEP_2)
	v_add_co_u32 v9, vcc_lo, s3, v4
	v_add_co_ci_u32_e32 v10, vcc_lo, s8, v5, vcc_lo
	v_add_co_u32 v4, vcc_lo, s9, v4
	v_add_co_ci_u32_e32 v5, vcc_lo, s10, v5, vcc_lo
	s_waitcnt vmcnt(0)
	v_add_nc_u32_e32 v11, s1, v11
	global_store_b32 v[9:10], v2, off
	global_store_b32 v[4:5], v11, off
	s_branch .LBB11_5
.LBB11_8:
	s_nop 0
	s_sendmsg sendmsg(MSG_DEALLOC_VGPRS)
	s_endpgm
	.section	.rodata,"a",@progbits
	.p2align	6, 0x0
	.amdhsa_kernel _ZN9rocsparseL23csr2csr_compress_kernelILi1024ELi32ELi32ELi64EfEEvii21rocsparse_index_base_PKT3_PKiS6_iS1_PS2_S6_PiNS_24const_host_device_scalarIS2_EEb
		.amdhsa_group_segment_fixed_size 0
		.amdhsa_private_segment_fixed_size 0
		.amdhsa_kernarg_size 84
		.amdhsa_user_sgpr_count 15
		.amdhsa_user_sgpr_dispatch_ptr 0
		.amdhsa_user_sgpr_queue_ptr 0
		.amdhsa_user_sgpr_kernarg_segment_ptr 1
		.amdhsa_user_sgpr_dispatch_id 0
		.amdhsa_user_sgpr_private_segment_size 0
		.amdhsa_wavefront_size32 1
		.amdhsa_uses_dynamic_stack 0
		.amdhsa_enable_private_segment 0
		.amdhsa_system_sgpr_workgroup_id_x 1
		.amdhsa_system_sgpr_workgroup_id_y 0
		.amdhsa_system_sgpr_workgroup_id_z 0
		.amdhsa_system_sgpr_workgroup_info 0
		.amdhsa_system_vgpr_workitem_id 0
		.amdhsa_next_free_vgpr 12
		.amdhsa_next_free_sgpr 16
		.amdhsa_reserve_vcc 1
		.amdhsa_float_round_mode_32 0
		.amdhsa_float_round_mode_16_64 0
		.amdhsa_float_denorm_mode_32 3
		.amdhsa_float_denorm_mode_16_64 3
		.amdhsa_dx10_clamp 1
		.amdhsa_ieee_mode 1
		.amdhsa_fp16_overflow 0
		.amdhsa_workgroup_processor_mode 1
		.amdhsa_memory_ordered 1
		.amdhsa_forward_progress 0
		.amdhsa_shared_vgpr_count 0
		.amdhsa_exception_fp_ieee_invalid_op 0
		.amdhsa_exception_fp_denorm_src 0
		.amdhsa_exception_fp_ieee_div_zero 0
		.amdhsa_exception_fp_ieee_overflow 0
		.amdhsa_exception_fp_ieee_underflow 0
		.amdhsa_exception_fp_ieee_inexact 0
		.amdhsa_exception_int_div_zero 0
	.end_amdhsa_kernel
	.section	.text._ZN9rocsparseL23csr2csr_compress_kernelILi1024ELi32ELi32ELi64EfEEvii21rocsparse_index_base_PKT3_PKiS6_iS1_PS2_S6_PiNS_24const_host_device_scalarIS2_EEb,"axG",@progbits,_ZN9rocsparseL23csr2csr_compress_kernelILi1024ELi32ELi32ELi64EfEEvii21rocsparse_index_base_PKT3_PKiS6_iS1_PS2_S6_PiNS_24const_host_device_scalarIS2_EEb,comdat
.Lfunc_end11:
	.size	_ZN9rocsparseL23csr2csr_compress_kernelILi1024ELi32ELi32ELi64EfEEvii21rocsparse_index_base_PKT3_PKiS6_iS1_PS2_S6_PiNS_24const_host_device_scalarIS2_EEb, .Lfunc_end11-_ZN9rocsparseL23csr2csr_compress_kernelILi1024ELi32ELi32ELi64EfEEvii21rocsparse_index_base_PKT3_PKiS6_iS1_PS2_S6_PiNS_24const_host_device_scalarIS2_EEb
                                        ; -- End function
	.section	.AMDGPU.csdata,"",@progbits
; Kernel info:
; codeLenInByte = 616
; NumSgprs: 18
; NumVgprs: 12
; ScratchSize: 0
; MemoryBound: 0
; FloatMode: 240
; IeeeMode: 1
; LDSByteSize: 0 bytes/workgroup (compile time only)
; SGPRBlocks: 2
; VGPRBlocks: 1
; NumSGPRsForWavesPerEU: 18
; NumVGPRsForWavesPerEU: 12
; Occupancy: 16
; WaveLimiterHint : 0
; COMPUTE_PGM_RSRC2:SCRATCH_EN: 0
; COMPUTE_PGM_RSRC2:USER_SGPR: 15
; COMPUTE_PGM_RSRC2:TRAP_HANDLER: 0
; COMPUTE_PGM_RSRC2:TGID_X_EN: 1
; COMPUTE_PGM_RSRC2:TGID_Y_EN: 0
; COMPUTE_PGM_RSRC2:TGID_Z_EN: 0
; COMPUTE_PGM_RSRC2:TIDIG_COMP_CNT: 0
	.section	.text._ZN9rocsparseL23csr2csr_compress_kernelILi1024ELi16ELi64ELi64EfEEvii21rocsparse_index_base_PKT3_PKiS6_iS1_PS2_S6_PiNS_24const_host_device_scalarIS2_EEb,"axG",@progbits,_ZN9rocsparseL23csr2csr_compress_kernelILi1024ELi16ELi64ELi64EfEEvii21rocsparse_index_base_PKT3_PKiS6_iS1_PS2_S6_PiNS_24const_host_device_scalarIS2_EEb,comdat
	.globl	_ZN9rocsparseL23csr2csr_compress_kernelILi1024ELi16ELi64ELi64EfEEvii21rocsparse_index_base_PKT3_PKiS6_iS1_PS2_S6_PiNS_24const_host_device_scalarIS2_EEb ; -- Begin function _ZN9rocsparseL23csr2csr_compress_kernelILi1024ELi16ELi64ELi64EfEEvii21rocsparse_index_base_PKT3_PKiS6_iS1_PS2_S6_PiNS_24const_host_device_scalarIS2_EEb
	.p2align	8
	.type	_ZN9rocsparseL23csr2csr_compress_kernelILi1024ELi16ELi64ELi64EfEEvii21rocsparse_index_base_PKT3_PKiS6_iS1_PS2_S6_PiNS_24const_host_device_scalarIS2_EEb,@function
_ZN9rocsparseL23csr2csr_compress_kernelILi1024ELi16ELi64ELi64EfEEvii21rocsparse_index_base_PKT3_PKiS6_iS1_PS2_S6_PiNS_24const_host_device_scalarIS2_EEb: ; @_ZN9rocsparseL23csr2csr_compress_kernelILi1024ELi16ELi64ELi64EfEEvii21rocsparse_index_base_PKT3_PKiS6_iS1_PS2_S6_PiNS_24const_host_device_scalarIS2_EEb
; %bb.0:
	s_clause 0x1
	s_load_b32 s4, s[0:1], 0x50
	s_load_b64 s[2:3], s[0:1], 0x48
	s_waitcnt lgkmcnt(0)
	s_bitcmp1_b32 s4, 0
	s_cselect_b32 s4, -1, 0
	s_delay_alu instid0(SALU_CYCLE_1)
	s_and_b32 vcc_lo, exec_lo, s4
	s_cbranch_vccnz .LBB12_2
; %bb.1:
	s_load_b32 s2, s[2:3], 0x0
.LBB12_2:
	s_load_b32 s3, s[0:1], 0x0
	v_lshrrev_b32_e32 v1, 6, v0
	s_delay_alu instid0(VALU_DEP_1) | instskip(SKIP_1) | instid1(VALU_DEP_1)
	v_lshl_or_b32 v1, s15, 4, v1
	s_waitcnt lgkmcnt(0)
	v_cmp_gt_i32_e32 vcc_lo, s3, v1
	s_and_saveexec_b32 s3, vcc_lo
	s_cbranch_execz .LBB12_8
; %bb.3:
	s_clause 0x1
	s_load_b64 s[4:5], s[0:1], 0x18
	s_load_b32 s3, s[0:1], 0x8
	v_ashrrev_i32_e32 v2, 31, v1
	s_delay_alu instid0(VALU_DEP_1) | instskip(SKIP_1) | instid1(VALU_DEP_1)
	v_lshlrev_b64 v[1:2], 2, v[1:2]
	s_waitcnt lgkmcnt(0)
	v_add_co_u32 v3, vcc_lo, s4, v1
	s_delay_alu instid0(VALU_DEP_2) | instskip(SKIP_2) | instid1(VALU_DEP_1)
	v_add_co_ci_u32_e32 v4, vcc_lo, s5, v2, vcc_lo
	global_load_b64 v[4:5], v[3:4], off
	v_and_b32_e32 v3, 63, v0
	v_subrev_nc_u32_e32 v0, s3, v3
	s_waitcnt vmcnt(0)
	v_subrev_nc_u32_e32 v5, s3, v5
	s_delay_alu instid0(VALU_DEP_2) | instskip(NEXT) | instid1(VALU_DEP_1)
	v_add_nc_u32_e32 v0, v4, v0
	v_cmp_lt_i32_e32 vcc_lo, v0, v5
	s_and_b32 exec_lo, exec_lo, vcc_lo
	s_cbranch_execz .LBB12_8
; %bb.4:
	s_clause 0x1
	s_load_b128 s[8:11], s[0:1], 0x30
	s_load_b64 s[12:13], s[0:1], 0x40
	v_bfrev_b32_e32 v6, 0.5
	s_waitcnt lgkmcnt(0)
	v_add_co_u32 v1, vcc_lo, s10, v1
	v_add_co_ci_u32_e32 v2, vcc_lo, s11, v2, vcc_lo
	s_mov_b32 s11, 0
	global_load_b32 v1, v[1:2], off
	s_clause 0x2
	s_load_b32 s10, s[0:1], 0x2c
	s_load_b64 s[4:5], s[0:1], 0x10
	s_load_b64 s[6:7], s[0:1], 0x20
	v_xor_b32_e32 v2, 63, v3
	s_delay_alu instid0(VALU_DEP_1)
	v_lshrrev_b64 v[2:3], v2, -1
	s_waitcnt lgkmcnt(0)
	s_sub_i32 s1, s10, s3
	s_add_u32 s3, s8, -4
	s_addc_u32 s8, s9, -1
	s_add_u32 s9, s12, -4
	s_waitcnt vmcnt(0)
	v_subrev_nc_u32_e32 v7, s10, v1
	s_addc_u32 s10, s13, -1
	s_branch .LBB12_6
.LBB12_5:                               ;   in Loop: Header=BB12_6 Depth=1
	s_or_b32 exec_lo, exec_lo, s0
	ds_bpermute_b32 v1, v6, v8
	v_add_nc_u32_e32 v0, 64, v0
	s_delay_alu instid0(VALU_DEP_1)
	v_cmp_ge_i32_e32 vcc_lo, v0, v5
	s_or_b32 s11, vcc_lo, s11
	s_waitcnt lgkmcnt(0)
	v_add_nc_u32_e32 v7, v1, v7
	s_and_not1_b32 exec_lo, exec_lo, s11
	s_cbranch_execz .LBB12_8
.LBB12_6:                               ; =>This Inner Loop Header: Depth=1
	v_ashrrev_i32_e32 v1, 31, v0
	s_delay_alu instid0(VALU_DEP_1) | instskip(NEXT) | instid1(VALU_DEP_1)
	v_lshlrev_b64 v[3:4], 2, v[0:1]
	v_add_co_u32 v8, vcc_lo, s4, v3
	s_delay_alu instid0(VALU_DEP_2) | instskip(SKIP_4) | instid1(VALU_DEP_1)
	v_add_co_ci_u32_e32 v9, vcc_lo, s5, v4, vcc_lo
	global_load_b32 v1, v[8:9], off
	s_waitcnt vmcnt(0)
	v_cmp_gt_f32_e32 vcc_lo, 0, v1
	v_cndmask_b32_e64 v8, v1, -v1, vcc_lo
	v_cmp_lt_f32_e32 vcc_lo, s2, v8
	v_cmp_lt_f32_e64 s0, 0x800000, v8
	s_delay_alu instid0(VALU_DEP_1) | instskip(NEXT) | instid1(SALU_CYCLE_1)
	s_and_b32 s12, vcc_lo, s0
	v_cndmask_b32_e64 v8, 0, 1, s12
	s_delay_alu instid0(VALU_DEP_1) | instskip(SKIP_1) | instid1(VALU_DEP_1)
	v_cmp_ne_u32_e32 vcc_lo, 0, v8
	v_and_b32_e32 v8, vcc_lo, v2
	v_bcnt_u32_b32 v8, v8, 0
	s_and_saveexec_b32 s0, s12
	s_cbranch_execz .LBB12_5
; %bb.7:                                ;   in Loop: Header=BB12_6 Depth=1
	v_add_co_u32 v3, vcc_lo, s6, v3
	v_add_co_ci_u32_e32 v4, vcc_lo, s7, v4, vcc_lo
	global_load_b32 v11, v[3:4], off
	v_ashrrev_i32_e32 v4, 31, v7
	v_add_co_u32 v3, vcc_lo, v7, v8
	s_delay_alu instid0(VALU_DEP_2) | instskip(NEXT) | instid1(VALU_DEP_1)
	v_add_co_ci_u32_e32 v4, vcc_lo, 0, v4, vcc_lo
	v_lshlrev_b64 v[3:4], 2, v[3:4]
	s_delay_alu instid0(VALU_DEP_1) | instskip(NEXT) | instid1(VALU_DEP_2)
	v_add_co_u32 v9, vcc_lo, s3, v3
	v_add_co_ci_u32_e32 v10, vcc_lo, s8, v4, vcc_lo
	v_add_co_u32 v3, vcc_lo, s9, v3
	v_add_co_ci_u32_e32 v4, vcc_lo, s10, v4, vcc_lo
	s_waitcnt vmcnt(0)
	v_add_nc_u32_e32 v11, s1, v11
	global_store_b32 v[9:10], v1, off
	global_store_b32 v[3:4], v11, off
	s_branch .LBB12_5
.LBB12_8:
	s_nop 0
	s_sendmsg sendmsg(MSG_DEALLOC_VGPRS)
	s_endpgm
	.section	.rodata,"a",@progbits
	.p2align	6, 0x0
	.amdhsa_kernel _ZN9rocsparseL23csr2csr_compress_kernelILi1024ELi16ELi64ELi64EfEEvii21rocsparse_index_base_PKT3_PKiS6_iS1_PS2_S6_PiNS_24const_host_device_scalarIS2_EEb
		.amdhsa_group_segment_fixed_size 0
		.amdhsa_private_segment_fixed_size 0
		.amdhsa_kernarg_size 84
		.amdhsa_user_sgpr_count 15
		.amdhsa_user_sgpr_dispatch_ptr 0
		.amdhsa_user_sgpr_queue_ptr 0
		.amdhsa_user_sgpr_kernarg_segment_ptr 1
		.amdhsa_user_sgpr_dispatch_id 0
		.amdhsa_user_sgpr_private_segment_size 0
		.amdhsa_wavefront_size32 1
		.amdhsa_uses_dynamic_stack 0
		.amdhsa_enable_private_segment 0
		.amdhsa_system_sgpr_workgroup_id_x 1
		.amdhsa_system_sgpr_workgroup_id_y 0
		.amdhsa_system_sgpr_workgroup_id_z 0
		.amdhsa_system_sgpr_workgroup_info 0
		.amdhsa_system_vgpr_workitem_id 0
		.amdhsa_next_free_vgpr 12
		.amdhsa_next_free_sgpr 16
		.amdhsa_reserve_vcc 1
		.amdhsa_float_round_mode_32 0
		.amdhsa_float_round_mode_16_64 0
		.amdhsa_float_denorm_mode_32 3
		.amdhsa_float_denorm_mode_16_64 3
		.amdhsa_dx10_clamp 1
		.amdhsa_ieee_mode 1
		.amdhsa_fp16_overflow 0
		.amdhsa_workgroup_processor_mode 1
		.amdhsa_memory_ordered 1
		.amdhsa_forward_progress 0
		.amdhsa_shared_vgpr_count 0
		.amdhsa_exception_fp_ieee_invalid_op 0
		.amdhsa_exception_fp_denorm_src 0
		.amdhsa_exception_fp_ieee_div_zero 0
		.amdhsa_exception_fp_ieee_overflow 0
		.amdhsa_exception_fp_ieee_underflow 0
		.amdhsa_exception_fp_ieee_inexact 0
		.amdhsa_exception_int_div_zero 0
	.end_amdhsa_kernel
	.section	.text._ZN9rocsparseL23csr2csr_compress_kernelILi1024ELi16ELi64ELi64EfEEvii21rocsparse_index_base_PKT3_PKiS6_iS1_PS2_S6_PiNS_24const_host_device_scalarIS2_EEb,"axG",@progbits,_ZN9rocsparseL23csr2csr_compress_kernelILi1024ELi16ELi64ELi64EfEEvii21rocsparse_index_base_PKT3_PKiS6_iS1_PS2_S6_PiNS_24const_host_device_scalarIS2_EEb,comdat
.Lfunc_end12:
	.size	_ZN9rocsparseL23csr2csr_compress_kernelILi1024ELi16ELi64ELi64EfEEvii21rocsparse_index_base_PKT3_PKiS6_iS1_PS2_S6_PiNS_24const_host_device_scalarIS2_EEb, .Lfunc_end12-_ZN9rocsparseL23csr2csr_compress_kernelILi1024ELi16ELi64ELi64EfEEvii21rocsparse_index_base_PKT3_PKiS6_iS1_PS2_S6_PiNS_24const_host_device_scalarIS2_EEb
                                        ; -- End function
	.section	.AMDGPU.csdata,"",@progbits
; Kernel info:
; codeLenInByte = 600
; NumSgprs: 18
; NumVgprs: 12
; ScratchSize: 0
; MemoryBound: 0
; FloatMode: 240
; IeeeMode: 1
; LDSByteSize: 0 bytes/workgroup (compile time only)
; SGPRBlocks: 2
; VGPRBlocks: 1
; NumSGPRsForWavesPerEU: 18
; NumVGPRsForWavesPerEU: 12
; Occupancy: 16
; WaveLimiterHint : 0
; COMPUTE_PGM_RSRC2:SCRATCH_EN: 0
; COMPUTE_PGM_RSRC2:USER_SGPR: 15
; COMPUTE_PGM_RSRC2:TRAP_HANDLER: 0
; COMPUTE_PGM_RSRC2:TGID_X_EN: 1
; COMPUTE_PGM_RSRC2:TGID_Y_EN: 0
; COMPUTE_PGM_RSRC2:TGID_Z_EN: 0
; COMPUTE_PGM_RSRC2:TIDIG_COMP_CNT: 0
	.section	.text._ZN9rocsparseL23csr2csr_compress_kernelILi1024ELi512ELi2ELi32EdEEvii21rocsparse_index_base_PKT3_PKiS6_iS1_PS2_S6_PiNS_24const_host_device_scalarIS2_EEb,"axG",@progbits,_ZN9rocsparseL23csr2csr_compress_kernelILi1024ELi512ELi2ELi32EdEEvii21rocsparse_index_base_PKT3_PKiS6_iS1_PS2_S6_PiNS_24const_host_device_scalarIS2_EEb,comdat
	.globl	_ZN9rocsparseL23csr2csr_compress_kernelILi1024ELi512ELi2ELi32EdEEvii21rocsparse_index_base_PKT3_PKiS6_iS1_PS2_S6_PiNS_24const_host_device_scalarIS2_EEb ; -- Begin function _ZN9rocsparseL23csr2csr_compress_kernelILi1024ELi512ELi2ELi32EdEEvii21rocsparse_index_base_PKT3_PKiS6_iS1_PS2_S6_PiNS_24const_host_device_scalarIS2_EEb
	.p2align	8
	.type	_ZN9rocsparseL23csr2csr_compress_kernelILi1024ELi512ELi2ELi32EdEEvii21rocsparse_index_base_PKT3_PKiS6_iS1_PS2_S6_PiNS_24const_host_device_scalarIS2_EEb,@function
_ZN9rocsparseL23csr2csr_compress_kernelILi1024ELi512ELi2ELi32EdEEvii21rocsparse_index_base_PKT3_PKiS6_iS1_PS2_S6_PiNS_24const_host_device_scalarIS2_EEb: ; @_ZN9rocsparseL23csr2csr_compress_kernelILi1024ELi512ELi2ELi32EdEEvii21rocsparse_index_base_PKT3_PKiS6_iS1_PS2_S6_PiNS_24const_host_device_scalarIS2_EEb
; %bb.0:
	s_clause 0x1
	s_load_b32 s4, s[0:1], 0x50
	s_load_b64 s[2:3], s[0:1], 0x48
	s_waitcnt lgkmcnt(0)
	s_bitcmp1_b32 s4, 0
	v_dual_mov_b32 v1, s2 :: v_dual_mov_b32 v2, s3
	s_cselect_b32 s4, -1, 0
	s_delay_alu instid0(SALU_CYCLE_1)
	s_and_b32 vcc_lo, exec_lo, s4
	s_cbranch_vccnz .LBB13_2
; %bb.1:
	v_dual_mov_b32 v1, s2 :: v_dual_mov_b32 v2, s3
	flat_load_b64 v[1:2], v[1:2]
.LBB13_2:
	s_load_b32 s2, s[0:1], 0x0
	v_lshrrev_b32_e32 v3, 1, v0
	s_delay_alu instid0(VALU_DEP_1) | instskip(SKIP_1) | instid1(VALU_DEP_1)
	v_lshl_or_b32 v3, s15, 9, v3
	s_waitcnt lgkmcnt(0)
	v_cmp_gt_i32_e32 vcc_lo, s2, v3
	s_and_saveexec_b32 s2, vcc_lo
	s_cbranch_execz .LBB13_8
; %bb.3:
	s_clause 0x1
	s_load_b64 s[2:3], s[0:1], 0x18
	s_load_b32 s6, s[0:1], 0x8
	v_ashrrev_i32_e32 v4, 31, v3
	s_delay_alu instid0(VALU_DEP_1) | instskip(SKIP_1) | instid1(VALU_DEP_1)
	v_lshlrev_b64 v[4:5], 2, v[3:4]
	s_waitcnt lgkmcnt(0)
	v_add_co_u32 v6, vcc_lo, s2, v4
	s_delay_alu instid0(VALU_DEP_2) | instskip(SKIP_2) | instid1(VALU_DEP_1)
	v_add_co_ci_u32_e32 v7, vcc_lo, s3, v5, vcc_lo
	global_load_b64 v[7:8], v[6:7], off
	v_and_b32_e32 v6, 1, v0
	v_subrev_nc_u32_e32 v3, s6, v6
	s_waitcnt vmcnt(0)
	v_subrev_nc_u32_e32 v8, s6, v8
	s_delay_alu instid0(VALU_DEP_2) | instskip(NEXT) | instid1(VALU_DEP_1)
	v_add_nc_u32_e32 v3, v7, v3
	v_cmp_lt_i32_e32 vcc_lo, v3, v8
	s_and_b32 exec_lo, exec_lo, vcc_lo
	s_cbranch_execz .LBB13_8
; %bb.4:
	s_clause 0x1
	s_load_b128 s[8:11], s[0:1], 0x30
	s_load_b64 s[12:13], s[0:1], 0x40
	v_and_b32_e32 v9, 30, v0
	s_waitcnt lgkmcnt(0)
	v_add_co_u32 v4, vcc_lo, s10, v4
	v_add_co_ci_u32_e32 v5, vcc_lo, s11, v5, vcc_lo
	global_load_b32 v7, v[4:5], off
	s_clause 0x2
	s_load_b32 s7, s[0:1], 0x2c
	s_load_b64 s[2:3], s[0:1], 0x10
	s_load_b64 s[4:5], s[0:1], 0x20
	v_xor_b32_e32 v4, 63, v6
	v_mbcnt_lo_u32_b32 v6, -1, 0
	s_mov_b32 s1, 0
	s_delay_alu instid0(VALU_DEP_2) | instskip(NEXT) | instid1(VALU_DEP_2)
	v_lshrrev_b64 v[4:5], v4, -1
	v_lshl_or_b32 v0, v6, 2, 4
	s_delay_alu instid0(VALU_DEP_2)
	v_lshlrev_b64 v[5:6], v9, v[4:5]
	s_waitcnt lgkmcnt(0)
	s_sub_i32 s6, s7, s6
	s_waitcnt vmcnt(0)
	v_subrev_nc_u32_e32 v9, s7, v7
	s_add_u32 s7, s8, -8
	s_addc_u32 s8, s9, -1
	s_add_u32 s9, s12, -4
	s_addc_u32 s10, s13, -1
	s_branch .LBB13_6
.LBB13_5:                               ;   in Loop: Header=BB13_6 Depth=1
	s_or_b32 exec_lo, exec_lo, s0
	ds_bpermute_b32 v4, v0, v10
	v_add_nc_u32_e32 v3, 2, v3
	s_delay_alu instid0(VALU_DEP_1)
	v_cmp_ge_i32_e32 vcc_lo, v3, v8
	s_or_b32 s1, vcc_lo, s1
	s_waitcnt lgkmcnt(0)
	v_add_nc_u32_e32 v9, v4, v9
	s_and_not1_b32 exec_lo, exec_lo, s1
	s_cbranch_execz .LBB13_8
.LBB13_6:                               ; =>This Inner Loop Header: Depth=1
	v_ashrrev_i32_e32 v4, 31, v3
	s_delay_alu instid0(VALU_DEP_1) | instskip(NEXT) | instid1(VALU_DEP_1)
	v_lshlrev_b64 v[6:7], 3, v[3:4]
	v_add_co_u32 v6, vcc_lo, s2, v6
	s_delay_alu instid0(VALU_DEP_2) | instskip(SKIP_4) | instid1(VALU_DEP_1)
	v_add_co_ci_u32_e32 v7, vcc_lo, s3, v7, vcc_lo
	global_load_b64 v[6:7], v[6:7], off
	s_waitcnt vmcnt(0)
	v_cmp_gt_f64_e32 vcc_lo, 0, v[6:7]
	v_xor_b32_e32 v10, 0x80000000, v7
	v_cndmask_b32_e32 v11, v7, v10, vcc_lo
	v_cndmask_b32_e32 v10, v6, v6, vcc_lo
	s_delay_alu instid0(VALU_DEP_1) | instskip(SKIP_1) | instid1(VALU_DEP_1)
	v_cmp_gt_f64_e32 vcc_lo, v[10:11], v[1:2]
	v_cmp_lt_f64_e64 s0, 0x38100000, v[10:11]
	s_and_b32 s11, vcc_lo, s0
	s_delay_alu instid0(SALU_CYCLE_1) | instskip(NEXT) | instid1(VALU_DEP_1)
	v_cndmask_b32_e64 v10, 0, 1, s11
	v_cmp_ne_u32_e32 vcc_lo, 0, v10
	v_and_b32_e32 v10, vcc_lo, v5
	s_delay_alu instid0(VALU_DEP_1)
	v_bcnt_u32_b32 v10, v10, 0
	s_and_saveexec_b32 s0, s11
	s_cbranch_execz .LBB13_5
; %bb.7:                                ;   in Loop: Header=BB13_6 Depth=1
	v_lshlrev_b64 v[11:12], 2, v[3:4]
	s_delay_alu instid0(VALU_DEP_1) | instskip(NEXT) | instid1(VALU_DEP_2)
	v_add_co_u32 v11, vcc_lo, s4, v11
	v_add_co_ci_u32_e32 v12, vcc_lo, s5, v12, vcc_lo
	global_load_b32 v4, v[11:12], off
	v_ashrrev_i32_e32 v12, 31, v9
	v_add_co_u32 v11, vcc_lo, v9, v10
	s_delay_alu instid0(VALU_DEP_2) | instskip(NEXT) | instid1(VALU_DEP_1)
	v_add_co_ci_u32_e32 v12, vcc_lo, 0, v12, vcc_lo
	v_lshlrev_b64 v[13:14], 3, v[11:12]
	v_lshlrev_b64 v[11:12], 2, v[11:12]
	s_delay_alu instid0(VALU_DEP_2) | instskip(NEXT) | instid1(VALU_DEP_3)
	v_add_co_u32 v13, vcc_lo, s7, v13
	v_add_co_ci_u32_e32 v14, vcc_lo, s8, v14, vcc_lo
	s_delay_alu instid0(VALU_DEP_3) | instskip(NEXT) | instid1(VALU_DEP_4)
	v_add_co_u32 v11, vcc_lo, s9, v11
	v_add_co_ci_u32_e32 v12, vcc_lo, s10, v12, vcc_lo
	s_waitcnt vmcnt(0)
	v_add_nc_u32_e32 v4, s6, v4
	global_store_b64 v[13:14], v[6:7], off
	global_store_b32 v[11:12], v4, off
	s_branch .LBB13_5
.LBB13_8:
	s_nop 0
	s_sendmsg sendmsg(MSG_DEALLOC_VGPRS)
	s_endpgm
	.section	.rodata,"a",@progbits
	.p2align	6, 0x0
	.amdhsa_kernel _ZN9rocsparseL23csr2csr_compress_kernelILi1024ELi512ELi2ELi32EdEEvii21rocsparse_index_base_PKT3_PKiS6_iS1_PS2_S6_PiNS_24const_host_device_scalarIS2_EEb
		.amdhsa_group_segment_fixed_size 0
		.amdhsa_private_segment_fixed_size 0
		.amdhsa_kernarg_size 84
		.amdhsa_user_sgpr_count 15
		.amdhsa_user_sgpr_dispatch_ptr 0
		.amdhsa_user_sgpr_queue_ptr 0
		.amdhsa_user_sgpr_kernarg_segment_ptr 1
		.amdhsa_user_sgpr_dispatch_id 0
		.amdhsa_user_sgpr_private_segment_size 0
		.amdhsa_wavefront_size32 1
		.amdhsa_uses_dynamic_stack 0
		.amdhsa_enable_private_segment 0
		.amdhsa_system_sgpr_workgroup_id_x 1
		.amdhsa_system_sgpr_workgroup_id_y 0
		.amdhsa_system_sgpr_workgroup_id_z 0
		.amdhsa_system_sgpr_workgroup_info 0
		.amdhsa_system_vgpr_workitem_id 0
		.amdhsa_next_free_vgpr 15
		.amdhsa_next_free_sgpr 16
		.amdhsa_reserve_vcc 1
		.amdhsa_float_round_mode_32 0
		.amdhsa_float_round_mode_16_64 0
		.amdhsa_float_denorm_mode_32 3
		.amdhsa_float_denorm_mode_16_64 3
		.amdhsa_dx10_clamp 1
		.amdhsa_ieee_mode 1
		.amdhsa_fp16_overflow 0
		.amdhsa_workgroup_processor_mode 1
		.amdhsa_memory_ordered 1
		.amdhsa_forward_progress 0
		.amdhsa_shared_vgpr_count 0
		.amdhsa_exception_fp_ieee_invalid_op 0
		.amdhsa_exception_fp_denorm_src 0
		.amdhsa_exception_fp_ieee_div_zero 0
		.amdhsa_exception_fp_ieee_overflow 0
		.amdhsa_exception_fp_ieee_underflow 0
		.amdhsa_exception_fp_ieee_inexact 0
		.amdhsa_exception_int_div_zero 0
	.end_amdhsa_kernel
	.section	.text._ZN9rocsparseL23csr2csr_compress_kernelILi1024ELi512ELi2ELi32EdEEvii21rocsparse_index_base_PKT3_PKiS6_iS1_PS2_S6_PiNS_24const_host_device_scalarIS2_EEb,"axG",@progbits,_ZN9rocsparseL23csr2csr_compress_kernelILi1024ELi512ELi2ELi32EdEEvii21rocsparse_index_base_PKT3_PKiS6_iS1_PS2_S6_PiNS_24const_host_device_scalarIS2_EEb,comdat
.Lfunc_end13:
	.size	_ZN9rocsparseL23csr2csr_compress_kernelILi1024ELi512ELi2ELi32EdEEvii21rocsparse_index_base_PKT3_PKiS6_iS1_PS2_S6_PiNS_24const_host_device_scalarIS2_EEb, .Lfunc_end13-_ZN9rocsparseL23csr2csr_compress_kernelILi1024ELi512ELi2ELi32EdEEvii21rocsparse_index_base_PKT3_PKiS6_iS1_PS2_S6_PiNS_24const_host_device_scalarIS2_EEb
                                        ; -- End function
	.section	.AMDGPU.csdata,"",@progbits
; Kernel info:
; codeLenInByte = 680
; NumSgprs: 18
; NumVgprs: 15
; ScratchSize: 0
; MemoryBound: 0
; FloatMode: 240
; IeeeMode: 1
; LDSByteSize: 0 bytes/workgroup (compile time only)
; SGPRBlocks: 2
; VGPRBlocks: 1
; NumSGPRsForWavesPerEU: 18
; NumVGPRsForWavesPerEU: 15
; Occupancy: 16
; WaveLimiterHint : 0
; COMPUTE_PGM_RSRC2:SCRATCH_EN: 0
; COMPUTE_PGM_RSRC2:USER_SGPR: 15
; COMPUTE_PGM_RSRC2:TRAP_HANDLER: 0
; COMPUTE_PGM_RSRC2:TGID_X_EN: 1
; COMPUTE_PGM_RSRC2:TGID_Y_EN: 0
; COMPUTE_PGM_RSRC2:TGID_Z_EN: 0
; COMPUTE_PGM_RSRC2:TIDIG_COMP_CNT: 0
	.section	.text._ZN9rocsparseL23csr2csr_compress_kernelILi1024ELi256ELi4ELi32EdEEvii21rocsparse_index_base_PKT3_PKiS6_iS1_PS2_S6_PiNS_24const_host_device_scalarIS2_EEb,"axG",@progbits,_ZN9rocsparseL23csr2csr_compress_kernelILi1024ELi256ELi4ELi32EdEEvii21rocsparse_index_base_PKT3_PKiS6_iS1_PS2_S6_PiNS_24const_host_device_scalarIS2_EEb,comdat
	.globl	_ZN9rocsparseL23csr2csr_compress_kernelILi1024ELi256ELi4ELi32EdEEvii21rocsparse_index_base_PKT3_PKiS6_iS1_PS2_S6_PiNS_24const_host_device_scalarIS2_EEb ; -- Begin function _ZN9rocsparseL23csr2csr_compress_kernelILi1024ELi256ELi4ELi32EdEEvii21rocsparse_index_base_PKT3_PKiS6_iS1_PS2_S6_PiNS_24const_host_device_scalarIS2_EEb
	.p2align	8
	.type	_ZN9rocsparseL23csr2csr_compress_kernelILi1024ELi256ELi4ELi32EdEEvii21rocsparse_index_base_PKT3_PKiS6_iS1_PS2_S6_PiNS_24const_host_device_scalarIS2_EEb,@function
_ZN9rocsparseL23csr2csr_compress_kernelILi1024ELi256ELi4ELi32EdEEvii21rocsparse_index_base_PKT3_PKiS6_iS1_PS2_S6_PiNS_24const_host_device_scalarIS2_EEb: ; @_ZN9rocsparseL23csr2csr_compress_kernelILi1024ELi256ELi4ELi32EdEEvii21rocsparse_index_base_PKT3_PKiS6_iS1_PS2_S6_PiNS_24const_host_device_scalarIS2_EEb
; %bb.0:
	s_clause 0x1
	s_load_b32 s4, s[0:1], 0x50
	s_load_b64 s[2:3], s[0:1], 0x48
	s_waitcnt lgkmcnt(0)
	s_bitcmp1_b32 s4, 0
	v_dual_mov_b32 v1, s2 :: v_dual_mov_b32 v2, s3
	s_cselect_b32 s4, -1, 0
	s_delay_alu instid0(SALU_CYCLE_1)
	s_and_b32 vcc_lo, exec_lo, s4
	s_cbranch_vccnz .LBB14_2
; %bb.1:
	v_dual_mov_b32 v1, s2 :: v_dual_mov_b32 v2, s3
	flat_load_b64 v[1:2], v[1:2]
.LBB14_2:
	s_load_b32 s2, s[0:1], 0x0
	v_lshrrev_b32_e32 v3, 2, v0
	s_delay_alu instid0(VALU_DEP_1) | instskip(SKIP_1) | instid1(VALU_DEP_1)
	v_lshl_or_b32 v3, s15, 8, v3
	s_waitcnt lgkmcnt(0)
	v_cmp_gt_i32_e32 vcc_lo, s2, v3
	s_and_saveexec_b32 s2, vcc_lo
	s_cbranch_execz .LBB14_8
; %bb.3:
	s_clause 0x1
	s_load_b64 s[2:3], s[0:1], 0x18
	s_load_b32 s6, s[0:1], 0x8
	v_ashrrev_i32_e32 v4, 31, v3
	s_delay_alu instid0(VALU_DEP_1) | instskip(SKIP_1) | instid1(VALU_DEP_1)
	v_lshlrev_b64 v[4:5], 2, v[3:4]
	s_waitcnt lgkmcnt(0)
	v_add_co_u32 v6, vcc_lo, s2, v4
	s_delay_alu instid0(VALU_DEP_2) | instskip(SKIP_2) | instid1(VALU_DEP_1)
	v_add_co_ci_u32_e32 v7, vcc_lo, s3, v5, vcc_lo
	global_load_b64 v[7:8], v[6:7], off
	v_and_b32_e32 v6, 3, v0
	v_subrev_nc_u32_e32 v3, s6, v6
	s_waitcnt vmcnt(0)
	v_subrev_nc_u32_e32 v8, s6, v8
	s_delay_alu instid0(VALU_DEP_2) | instskip(NEXT) | instid1(VALU_DEP_1)
	v_add_nc_u32_e32 v3, v7, v3
	v_cmp_lt_i32_e32 vcc_lo, v3, v8
	s_and_b32 exec_lo, exec_lo, vcc_lo
	s_cbranch_execz .LBB14_8
; %bb.4:
	s_clause 0x1
	s_load_b128 s[8:11], s[0:1], 0x30
	s_load_b64 s[12:13], s[0:1], 0x40
	v_and_b32_e32 v9, 28, v0
	s_waitcnt lgkmcnt(0)
	v_add_co_u32 v4, vcc_lo, s10, v4
	v_add_co_ci_u32_e32 v5, vcc_lo, s11, v5, vcc_lo
	global_load_b32 v7, v[4:5], off
	s_clause 0x2
	s_load_b32 s7, s[0:1], 0x2c
	s_load_b64 s[2:3], s[0:1], 0x10
	s_load_b64 s[4:5], s[0:1], 0x20
	v_xor_b32_e32 v4, 63, v6
	v_mbcnt_lo_u32_b32 v6, -1, 0
	s_mov_b32 s1, 0
	s_delay_alu instid0(VALU_DEP_2) | instskip(NEXT) | instid1(VALU_DEP_2)
	v_lshrrev_b64 v[4:5], v4, -1
	v_lshl_or_b32 v0, v6, 2, 12
	s_delay_alu instid0(VALU_DEP_2)
	v_lshlrev_b64 v[5:6], v9, v[4:5]
	s_waitcnt lgkmcnt(0)
	s_sub_i32 s6, s7, s6
	s_waitcnt vmcnt(0)
	v_subrev_nc_u32_e32 v9, s7, v7
	s_add_u32 s7, s8, -8
	s_addc_u32 s8, s9, -1
	s_add_u32 s9, s12, -4
	s_addc_u32 s10, s13, -1
	s_branch .LBB14_6
.LBB14_5:                               ;   in Loop: Header=BB14_6 Depth=1
	s_or_b32 exec_lo, exec_lo, s0
	ds_bpermute_b32 v4, v0, v10
	v_add_nc_u32_e32 v3, 4, v3
	s_delay_alu instid0(VALU_DEP_1)
	v_cmp_ge_i32_e32 vcc_lo, v3, v8
	s_or_b32 s1, vcc_lo, s1
	s_waitcnt lgkmcnt(0)
	v_add_nc_u32_e32 v9, v4, v9
	s_and_not1_b32 exec_lo, exec_lo, s1
	s_cbranch_execz .LBB14_8
.LBB14_6:                               ; =>This Inner Loop Header: Depth=1
	v_ashrrev_i32_e32 v4, 31, v3
	s_delay_alu instid0(VALU_DEP_1) | instskip(NEXT) | instid1(VALU_DEP_1)
	v_lshlrev_b64 v[6:7], 3, v[3:4]
	v_add_co_u32 v6, vcc_lo, s2, v6
	s_delay_alu instid0(VALU_DEP_2) | instskip(SKIP_4) | instid1(VALU_DEP_1)
	v_add_co_ci_u32_e32 v7, vcc_lo, s3, v7, vcc_lo
	global_load_b64 v[6:7], v[6:7], off
	s_waitcnt vmcnt(0)
	v_cmp_gt_f64_e32 vcc_lo, 0, v[6:7]
	v_xor_b32_e32 v10, 0x80000000, v7
	v_cndmask_b32_e32 v11, v7, v10, vcc_lo
	v_cndmask_b32_e32 v10, v6, v6, vcc_lo
	s_delay_alu instid0(VALU_DEP_1) | instskip(SKIP_1) | instid1(VALU_DEP_1)
	v_cmp_gt_f64_e32 vcc_lo, v[10:11], v[1:2]
	v_cmp_lt_f64_e64 s0, 0x38100000, v[10:11]
	s_and_b32 s11, vcc_lo, s0
	s_delay_alu instid0(SALU_CYCLE_1) | instskip(NEXT) | instid1(VALU_DEP_1)
	v_cndmask_b32_e64 v10, 0, 1, s11
	v_cmp_ne_u32_e32 vcc_lo, 0, v10
	v_and_b32_e32 v10, vcc_lo, v5
	s_delay_alu instid0(VALU_DEP_1)
	v_bcnt_u32_b32 v10, v10, 0
	s_and_saveexec_b32 s0, s11
	s_cbranch_execz .LBB14_5
; %bb.7:                                ;   in Loop: Header=BB14_6 Depth=1
	v_lshlrev_b64 v[11:12], 2, v[3:4]
	s_delay_alu instid0(VALU_DEP_1) | instskip(NEXT) | instid1(VALU_DEP_2)
	v_add_co_u32 v11, vcc_lo, s4, v11
	v_add_co_ci_u32_e32 v12, vcc_lo, s5, v12, vcc_lo
	global_load_b32 v4, v[11:12], off
	v_ashrrev_i32_e32 v12, 31, v9
	v_add_co_u32 v11, vcc_lo, v9, v10
	s_delay_alu instid0(VALU_DEP_2) | instskip(NEXT) | instid1(VALU_DEP_1)
	v_add_co_ci_u32_e32 v12, vcc_lo, 0, v12, vcc_lo
	v_lshlrev_b64 v[13:14], 3, v[11:12]
	v_lshlrev_b64 v[11:12], 2, v[11:12]
	s_delay_alu instid0(VALU_DEP_2) | instskip(NEXT) | instid1(VALU_DEP_3)
	v_add_co_u32 v13, vcc_lo, s7, v13
	v_add_co_ci_u32_e32 v14, vcc_lo, s8, v14, vcc_lo
	s_delay_alu instid0(VALU_DEP_3) | instskip(NEXT) | instid1(VALU_DEP_4)
	v_add_co_u32 v11, vcc_lo, s9, v11
	v_add_co_ci_u32_e32 v12, vcc_lo, s10, v12, vcc_lo
	s_waitcnt vmcnt(0)
	v_add_nc_u32_e32 v4, s6, v4
	global_store_b64 v[13:14], v[6:7], off
	global_store_b32 v[11:12], v4, off
	s_branch .LBB14_5
.LBB14_8:
	s_nop 0
	s_sendmsg sendmsg(MSG_DEALLOC_VGPRS)
	s_endpgm
	.section	.rodata,"a",@progbits
	.p2align	6, 0x0
	.amdhsa_kernel _ZN9rocsparseL23csr2csr_compress_kernelILi1024ELi256ELi4ELi32EdEEvii21rocsparse_index_base_PKT3_PKiS6_iS1_PS2_S6_PiNS_24const_host_device_scalarIS2_EEb
		.amdhsa_group_segment_fixed_size 0
		.amdhsa_private_segment_fixed_size 0
		.amdhsa_kernarg_size 84
		.amdhsa_user_sgpr_count 15
		.amdhsa_user_sgpr_dispatch_ptr 0
		.amdhsa_user_sgpr_queue_ptr 0
		.amdhsa_user_sgpr_kernarg_segment_ptr 1
		.amdhsa_user_sgpr_dispatch_id 0
		.amdhsa_user_sgpr_private_segment_size 0
		.amdhsa_wavefront_size32 1
		.amdhsa_uses_dynamic_stack 0
		.amdhsa_enable_private_segment 0
		.amdhsa_system_sgpr_workgroup_id_x 1
		.amdhsa_system_sgpr_workgroup_id_y 0
		.amdhsa_system_sgpr_workgroup_id_z 0
		.amdhsa_system_sgpr_workgroup_info 0
		.amdhsa_system_vgpr_workitem_id 0
		.amdhsa_next_free_vgpr 15
		.amdhsa_next_free_sgpr 16
		.amdhsa_reserve_vcc 1
		.amdhsa_float_round_mode_32 0
		.amdhsa_float_round_mode_16_64 0
		.amdhsa_float_denorm_mode_32 3
		.amdhsa_float_denorm_mode_16_64 3
		.amdhsa_dx10_clamp 1
		.amdhsa_ieee_mode 1
		.amdhsa_fp16_overflow 0
		.amdhsa_workgroup_processor_mode 1
		.amdhsa_memory_ordered 1
		.amdhsa_forward_progress 0
		.amdhsa_shared_vgpr_count 0
		.amdhsa_exception_fp_ieee_invalid_op 0
		.amdhsa_exception_fp_denorm_src 0
		.amdhsa_exception_fp_ieee_div_zero 0
		.amdhsa_exception_fp_ieee_overflow 0
		.amdhsa_exception_fp_ieee_underflow 0
		.amdhsa_exception_fp_ieee_inexact 0
		.amdhsa_exception_int_div_zero 0
	.end_amdhsa_kernel
	.section	.text._ZN9rocsparseL23csr2csr_compress_kernelILi1024ELi256ELi4ELi32EdEEvii21rocsparse_index_base_PKT3_PKiS6_iS1_PS2_S6_PiNS_24const_host_device_scalarIS2_EEb,"axG",@progbits,_ZN9rocsparseL23csr2csr_compress_kernelILi1024ELi256ELi4ELi32EdEEvii21rocsparse_index_base_PKT3_PKiS6_iS1_PS2_S6_PiNS_24const_host_device_scalarIS2_EEb,comdat
.Lfunc_end14:
	.size	_ZN9rocsparseL23csr2csr_compress_kernelILi1024ELi256ELi4ELi32EdEEvii21rocsparse_index_base_PKT3_PKiS6_iS1_PS2_S6_PiNS_24const_host_device_scalarIS2_EEb, .Lfunc_end14-_ZN9rocsparseL23csr2csr_compress_kernelILi1024ELi256ELi4ELi32EdEEvii21rocsparse_index_base_PKT3_PKiS6_iS1_PS2_S6_PiNS_24const_host_device_scalarIS2_EEb
                                        ; -- End function
	.section	.AMDGPU.csdata,"",@progbits
; Kernel info:
; codeLenInByte = 680
; NumSgprs: 18
; NumVgprs: 15
; ScratchSize: 0
; MemoryBound: 0
; FloatMode: 240
; IeeeMode: 1
; LDSByteSize: 0 bytes/workgroup (compile time only)
; SGPRBlocks: 2
; VGPRBlocks: 1
; NumSGPRsForWavesPerEU: 18
; NumVGPRsForWavesPerEU: 15
; Occupancy: 16
; WaveLimiterHint : 0
; COMPUTE_PGM_RSRC2:SCRATCH_EN: 0
; COMPUTE_PGM_RSRC2:USER_SGPR: 15
; COMPUTE_PGM_RSRC2:TRAP_HANDLER: 0
; COMPUTE_PGM_RSRC2:TGID_X_EN: 1
; COMPUTE_PGM_RSRC2:TGID_Y_EN: 0
; COMPUTE_PGM_RSRC2:TGID_Z_EN: 0
; COMPUTE_PGM_RSRC2:TIDIG_COMP_CNT: 0
	.section	.text._ZN9rocsparseL23csr2csr_compress_kernelILi1024ELi128ELi8ELi32EdEEvii21rocsparse_index_base_PKT3_PKiS6_iS1_PS2_S6_PiNS_24const_host_device_scalarIS2_EEb,"axG",@progbits,_ZN9rocsparseL23csr2csr_compress_kernelILi1024ELi128ELi8ELi32EdEEvii21rocsparse_index_base_PKT3_PKiS6_iS1_PS2_S6_PiNS_24const_host_device_scalarIS2_EEb,comdat
	.globl	_ZN9rocsparseL23csr2csr_compress_kernelILi1024ELi128ELi8ELi32EdEEvii21rocsparse_index_base_PKT3_PKiS6_iS1_PS2_S6_PiNS_24const_host_device_scalarIS2_EEb ; -- Begin function _ZN9rocsparseL23csr2csr_compress_kernelILi1024ELi128ELi8ELi32EdEEvii21rocsparse_index_base_PKT3_PKiS6_iS1_PS2_S6_PiNS_24const_host_device_scalarIS2_EEb
	.p2align	8
	.type	_ZN9rocsparseL23csr2csr_compress_kernelILi1024ELi128ELi8ELi32EdEEvii21rocsparse_index_base_PKT3_PKiS6_iS1_PS2_S6_PiNS_24const_host_device_scalarIS2_EEb,@function
_ZN9rocsparseL23csr2csr_compress_kernelILi1024ELi128ELi8ELi32EdEEvii21rocsparse_index_base_PKT3_PKiS6_iS1_PS2_S6_PiNS_24const_host_device_scalarIS2_EEb: ; @_ZN9rocsparseL23csr2csr_compress_kernelILi1024ELi128ELi8ELi32EdEEvii21rocsparse_index_base_PKT3_PKiS6_iS1_PS2_S6_PiNS_24const_host_device_scalarIS2_EEb
; %bb.0:
	s_clause 0x1
	s_load_b32 s4, s[0:1], 0x50
	s_load_b64 s[2:3], s[0:1], 0x48
	s_waitcnt lgkmcnt(0)
	s_bitcmp1_b32 s4, 0
	v_dual_mov_b32 v1, s2 :: v_dual_mov_b32 v2, s3
	s_cselect_b32 s4, -1, 0
	s_delay_alu instid0(SALU_CYCLE_1)
	s_and_b32 vcc_lo, exec_lo, s4
	s_cbranch_vccnz .LBB15_2
; %bb.1:
	v_dual_mov_b32 v1, s2 :: v_dual_mov_b32 v2, s3
	flat_load_b64 v[1:2], v[1:2]
.LBB15_2:
	s_load_b32 s2, s[0:1], 0x0
	v_lshrrev_b32_e32 v3, 3, v0
	s_delay_alu instid0(VALU_DEP_1) | instskip(SKIP_1) | instid1(VALU_DEP_1)
	v_lshl_or_b32 v3, s15, 7, v3
	s_waitcnt lgkmcnt(0)
	v_cmp_gt_i32_e32 vcc_lo, s2, v3
	s_and_saveexec_b32 s2, vcc_lo
	s_cbranch_execz .LBB15_8
; %bb.3:
	s_clause 0x1
	s_load_b64 s[2:3], s[0:1], 0x18
	s_load_b32 s6, s[0:1], 0x8
	v_ashrrev_i32_e32 v4, 31, v3
	s_delay_alu instid0(VALU_DEP_1) | instskip(SKIP_1) | instid1(VALU_DEP_1)
	v_lshlrev_b64 v[4:5], 2, v[3:4]
	s_waitcnt lgkmcnt(0)
	v_add_co_u32 v6, vcc_lo, s2, v4
	s_delay_alu instid0(VALU_DEP_2) | instskip(SKIP_2) | instid1(VALU_DEP_1)
	v_add_co_ci_u32_e32 v7, vcc_lo, s3, v5, vcc_lo
	global_load_b64 v[7:8], v[6:7], off
	v_and_b32_e32 v6, 7, v0
	v_subrev_nc_u32_e32 v3, s6, v6
	s_waitcnt vmcnt(0)
	v_subrev_nc_u32_e32 v8, s6, v8
	s_delay_alu instid0(VALU_DEP_2) | instskip(NEXT) | instid1(VALU_DEP_1)
	v_add_nc_u32_e32 v3, v7, v3
	v_cmp_lt_i32_e32 vcc_lo, v3, v8
	s_and_b32 exec_lo, exec_lo, vcc_lo
	s_cbranch_execz .LBB15_8
; %bb.4:
	s_clause 0x1
	s_load_b128 s[8:11], s[0:1], 0x30
	s_load_b64 s[12:13], s[0:1], 0x40
	v_and_b32_e32 v9, 24, v0
	s_waitcnt lgkmcnt(0)
	v_add_co_u32 v4, vcc_lo, s10, v4
	v_add_co_ci_u32_e32 v5, vcc_lo, s11, v5, vcc_lo
	global_load_b32 v7, v[4:5], off
	s_clause 0x2
	s_load_b32 s7, s[0:1], 0x2c
	s_load_b64 s[2:3], s[0:1], 0x10
	s_load_b64 s[4:5], s[0:1], 0x20
	v_xor_b32_e32 v4, 63, v6
	v_mbcnt_lo_u32_b32 v6, -1, 0
	s_mov_b32 s1, 0
	s_delay_alu instid0(VALU_DEP_2) | instskip(NEXT) | instid1(VALU_DEP_2)
	v_lshrrev_b64 v[4:5], v4, -1
	v_lshl_or_b32 v0, v6, 2, 28
	s_delay_alu instid0(VALU_DEP_2)
	v_lshlrev_b64 v[5:6], v9, v[4:5]
	s_waitcnt lgkmcnt(0)
	s_sub_i32 s6, s7, s6
	s_waitcnt vmcnt(0)
	v_subrev_nc_u32_e32 v9, s7, v7
	s_add_u32 s7, s8, -8
	s_addc_u32 s8, s9, -1
	s_add_u32 s9, s12, -4
	s_addc_u32 s10, s13, -1
	s_branch .LBB15_6
.LBB15_5:                               ;   in Loop: Header=BB15_6 Depth=1
	s_or_b32 exec_lo, exec_lo, s0
	ds_bpermute_b32 v4, v0, v10
	v_add_nc_u32_e32 v3, 8, v3
	s_delay_alu instid0(VALU_DEP_1)
	v_cmp_ge_i32_e32 vcc_lo, v3, v8
	s_or_b32 s1, vcc_lo, s1
	s_waitcnt lgkmcnt(0)
	v_add_nc_u32_e32 v9, v4, v9
	s_and_not1_b32 exec_lo, exec_lo, s1
	s_cbranch_execz .LBB15_8
.LBB15_6:                               ; =>This Inner Loop Header: Depth=1
	v_ashrrev_i32_e32 v4, 31, v3
	s_delay_alu instid0(VALU_DEP_1) | instskip(NEXT) | instid1(VALU_DEP_1)
	v_lshlrev_b64 v[6:7], 3, v[3:4]
	v_add_co_u32 v6, vcc_lo, s2, v6
	s_delay_alu instid0(VALU_DEP_2) | instskip(SKIP_4) | instid1(VALU_DEP_1)
	v_add_co_ci_u32_e32 v7, vcc_lo, s3, v7, vcc_lo
	global_load_b64 v[6:7], v[6:7], off
	s_waitcnt vmcnt(0)
	v_cmp_gt_f64_e32 vcc_lo, 0, v[6:7]
	v_xor_b32_e32 v10, 0x80000000, v7
	v_cndmask_b32_e32 v11, v7, v10, vcc_lo
	v_cndmask_b32_e32 v10, v6, v6, vcc_lo
	s_delay_alu instid0(VALU_DEP_1) | instskip(SKIP_1) | instid1(VALU_DEP_1)
	v_cmp_gt_f64_e32 vcc_lo, v[10:11], v[1:2]
	v_cmp_lt_f64_e64 s0, 0x38100000, v[10:11]
	s_and_b32 s11, vcc_lo, s0
	s_delay_alu instid0(SALU_CYCLE_1) | instskip(NEXT) | instid1(VALU_DEP_1)
	v_cndmask_b32_e64 v10, 0, 1, s11
	v_cmp_ne_u32_e32 vcc_lo, 0, v10
	v_and_b32_e32 v10, vcc_lo, v5
	s_delay_alu instid0(VALU_DEP_1)
	v_bcnt_u32_b32 v10, v10, 0
	s_and_saveexec_b32 s0, s11
	s_cbranch_execz .LBB15_5
; %bb.7:                                ;   in Loop: Header=BB15_6 Depth=1
	v_lshlrev_b64 v[11:12], 2, v[3:4]
	s_delay_alu instid0(VALU_DEP_1) | instskip(NEXT) | instid1(VALU_DEP_2)
	v_add_co_u32 v11, vcc_lo, s4, v11
	v_add_co_ci_u32_e32 v12, vcc_lo, s5, v12, vcc_lo
	global_load_b32 v4, v[11:12], off
	v_ashrrev_i32_e32 v12, 31, v9
	v_add_co_u32 v11, vcc_lo, v9, v10
	s_delay_alu instid0(VALU_DEP_2) | instskip(NEXT) | instid1(VALU_DEP_1)
	v_add_co_ci_u32_e32 v12, vcc_lo, 0, v12, vcc_lo
	v_lshlrev_b64 v[13:14], 3, v[11:12]
	v_lshlrev_b64 v[11:12], 2, v[11:12]
	s_delay_alu instid0(VALU_DEP_2) | instskip(NEXT) | instid1(VALU_DEP_3)
	v_add_co_u32 v13, vcc_lo, s7, v13
	v_add_co_ci_u32_e32 v14, vcc_lo, s8, v14, vcc_lo
	s_delay_alu instid0(VALU_DEP_3) | instskip(NEXT) | instid1(VALU_DEP_4)
	v_add_co_u32 v11, vcc_lo, s9, v11
	v_add_co_ci_u32_e32 v12, vcc_lo, s10, v12, vcc_lo
	s_waitcnt vmcnt(0)
	v_add_nc_u32_e32 v4, s6, v4
	global_store_b64 v[13:14], v[6:7], off
	global_store_b32 v[11:12], v4, off
	s_branch .LBB15_5
.LBB15_8:
	s_nop 0
	s_sendmsg sendmsg(MSG_DEALLOC_VGPRS)
	s_endpgm
	.section	.rodata,"a",@progbits
	.p2align	6, 0x0
	.amdhsa_kernel _ZN9rocsparseL23csr2csr_compress_kernelILi1024ELi128ELi8ELi32EdEEvii21rocsparse_index_base_PKT3_PKiS6_iS1_PS2_S6_PiNS_24const_host_device_scalarIS2_EEb
		.amdhsa_group_segment_fixed_size 0
		.amdhsa_private_segment_fixed_size 0
		.amdhsa_kernarg_size 84
		.amdhsa_user_sgpr_count 15
		.amdhsa_user_sgpr_dispatch_ptr 0
		.amdhsa_user_sgpr_queue_ptr 0
		.amdhsa_user_sgpr_kernarg_segment_ptr 1
		.amdhsa_user_sgpr_dispatch_id 0
		.amdhsa_user_sgpr_private_segment_size 0
		.amdhsa_wavefront_size32 1
		.amdhsa_uses_dynamic_stack 0
		.amdhsa_enable_private_segment 0
		.amdhsa_system_sgpr_workgroup_id_x 1
		.amdhsa_system_sgpr_workgroup_id_y 0
		.amdhsa_system_sgpr_workgroup_id_z 0
		.amdhsa_system_sgpr_workgroup_info 0
		.amdhsa_system_vgpr_workitem_id 0
		.amdhsa_next_free_vgpr 15
		.amdhsa_next_free_sgpr 16
		.amdhsa_reserve_vcc 1
		.amdhsa_float_round_mode_32 0
		.amdhsa_float_round_mode_16_64 0
		.amdhsa_float_denorm_mode_32 3
		.amdhsa_float_denorm_mode_16_64 3
		.amdhsa_dx10_clamp 1
		.amdhsa_ieee_mode 1
		.amdhsa_fp16_overflow 0
		.amdhsa_workgroup_processor_mode 1
		.amdhsa_memory_ordered 1
		.amdhsa_forward_progress 0
		.amdhsa_shared_vgpr_count 0
		.amdhsa_exception_fp_ieee_invalid_op 0
		.amdhsa_exception_fp_denorm_src 0
		.amdhsa_exception_fp_ieee_div_zero 0
		.amdhsa_exception_fp_ieee_overflow 0
		.amdhsa_exception_fp_ieee_underflow 0
		.amdhsa_exception_fp_ieee_inexact 0
		.amdhsa_exception_int_div_zero 0
	.end_amdhsa_kernel
	.section	.text._ZN9rocsparseL23csr2csr_compress_kernelILi1024ELi128ELi8ELi32EdEEvii21rocsparse_index_base_PKT3_PKiS6_iS1_PS2_S6_PiNS_24const_host_device_scalarIS2_EEb,"axG",@progbits,_ZN9rocsparseL23csr2csr_compress_kernelILi1024ELi128ELi8ELi32EdEEvii21rocsparse_index_base_PKT3_PKiS6_iS1_PS2_S6_PiNS_24const_host_device_scalarIS2_EEb,comdat
.Lfunc_end15:
	.size	_ZN9rocsparseL23csr2csr_compress_kernelILi1024ELi128ELi8ELi32EdEEvii21rocsparse_index_base_PKT3_PKiS6_iS1_PS2_S6_PiNS_24const_host_device_scalarIS2_EEb, .Lfunc_end15-_ZN9rocsparseL23csr2csr_compress_kernelILi1024ELi128ELi8ELi32EdEEvii21rocsparse_index_base_PKT3_PKiS6_iS1_PS2_S6_PiNS_24const_host_device_scalarIS2_EEb
                                        ; -- End function
	.section	.AMDGPU.csdata,"",@progbits
; Kernel info:
; codeLenInByte = 680
; NumSgprs: 18
; NumVgprs: 15
; ScratchSize: 0
; MemoryBound: 0
; FloatMode: 240
; IeeeMode: 1
; LDSByteSize: 0 bytes/workgroup (compile time only)
; SGPRBlocks: 2
; VGPRBlocks: 1
; NumSGPRsForWavesPerEU: 18
; NumVGPRsForWavesPerEU: 15
; Occupancy: 16
; WaveLimiterHint : 0
; COMPUTE_PGM_RSRC2:SCRATCH_EN: 0
; COMPUTE_PGM_RSRC2:USER_SGPR: 15
; COMPUTE_PGM_RSRC2:TRAP_HANDLER: 0
; COMPUTE_PGM_RSRC2:TGID_X_EN: 1
; COMPUTE_PGM_RSRC2:TGID_Y_EN: 0
; COMPUTE_PGM_RSRC2:TGID_Z_EN: 0
; COMPUTE_PGM_RSRC2:TIDIG_COMP_CNT: 0
	.section	.text._ZN9rocsparseL23csr2csr_compress_kernelILi1024ELi64ELi16ELi32EdEEvii21rocsparse_index_base_PKT3_PKiS6_iS1_PS2_S6_PiNS_24const_host_device_scalarIS2_EEb,"axG",@progbits,_ZN9rocsparseL23csr2csr_compress_kernelILi1024ELi64ELi16ELi32EdEEvii21rocsparse_index_base_PKT3_PKiS6_iS1_PS2_S6_PiNS_24const_host_device_scalarIS2_EEb,comdat
	.globl	_ZN9rocsparseL23csr2csr_compress_kernelILi1024ELi64ELi16ELi32EdEEvii21rocsparse_index_base_PKT3_PKiS6_iS1_PS2_S6_PiNS_24const_host_device_scalarIS2_EEb ; -- Begin function _ZN9rocsparseL23csr2csr_compress_kernelILi1024ELi64ELi16ELi32EdEEvii21rocsparse_index_base_PKT3_PKiS6_iS1_PS2_S6_PiNS_24const_host_device_scalarIS2_EEb
	.p2align	8
	.type	_ZN9rocsparseL23csr2csr_compress_kernelILi1024ELi64ELi16ELi32EdEEvii21rocsparse_index_base_PKT3_PKiS6_iS1_PS2_S6_PiNS_24const_host_device_scalarIS2_EEb,@function
_ZN9rocsparseL23csr2csr_compress_kernelILi1024ELi64ELi16ELi32EdEEvii21rocsparse_index_base_PKT3_PKiS6_iS1_PS2_S6_PiNS_24const_host_device_scalarIS2_EEb: ; @_ZN9rocsparseL23csr2csr_compress_kernelILi1024ELi64ELi16ELi32EdEEvii21rocsparse_index_base_PKT3_PKiS6_iS1_PS2_S6_PiNS_24const_host_device_scalarIS2_EEb
; %bb.0:
	s_clause 0x1
	s_load_b32 s4, s[0:1], 0x50
	s_load_b64 s[2:3], s[0:1], 0x48
	s_waitcnt lgkmcnt(0)
	s_bitcmp1_b32 s4, 0
	v_dual_mov_b32 v1, s2 :: v_dual_mov_b32 v2, s3
	s_cselect_b32 s4, -1, 0
	s_delay_alu instid0(SALU_CYCLE_1)
	s_and_b32 vcc_lo, exec_lo, s4
	s_cbranch_vccnz .LBB16_2
; %bb.1:
	v_dual_mov_b32 v1, s2 :: v_dual_mov_b32 v2, s3
	flat_load_b64 v[1:2], v[1:2]
.LBB16_2:
	s_load_b32 s2, s[0:1], 0x0
	v_lshrrev_b32_e32 v3, 4, v0
	s_delay_alu instid0(VALU_DEP_1) | instskip(SKIP_1) | instid1(VALU_DEP_1)
	v_lshl_or_b32 v3, s15, 6, v3
	s_waitcnt lgkmcnt(0)
	v_cmp_gt_i32_e32 vcc_lo, s2, v3
	s_and_saveexec_b32 s2, vcc_lo
	s_cbranch_execz .LBB16_8
; %bb.3:
	s_clause 0x1
	s_load_b64 s[2:3], s[0:1], 0x18
	s_load_b32 s6, s[0:1], 0x8
	v_ashrrev_i32_e32 v4, 31, v3
	s_delay_alu instid0(VALU_DEP_1) | instskip(SKIP_1) | instid1(VALU_DEP_1)
	v_lshlrev_b64 v[4:5], 2, v[3:4]
	s_waitcnt lgkmcnt(0)
	v_add_co_u32 v6, vcc_lo, s2, v4
	s_delay_alu instid0(VALU_DEP_2) | instskip(SKIP_2) | instid1(VALU_DEP_1)
	v_add_co_ci_u32_e32 v7, vcc_lo, s3, v5, vcc_lo
	global_load_b64 v[7:8], v[6:7], off
	v_and_b32_e32 v6, 15, v0
	v_subrev_nc_u32_e32 v3, s6, v6
	s_waitcnt vmcnt(0)
	v_subrev_nc_u32_e32 v8, s6, v8
	s_delay_alu instid0(VALU_DEP_2) | instskip(NEXT) | instid1(VALU_DEP_1)
	v_add_nc_u32_e32 v3, v7, v3
	v_cmp_lt_i32_e32 vcc_lo, v3, v8
	s_and_b32 exec_lo, exec_lo, vcc_lo
	s_cbranch_execz .LBB16_8
; %bb.4:
	s_clause 0x1
	s_load_b128 s[8:11], s[0:1], 0x30
	s_load_b64 s[12:13], s[0:1], 0x40
	v_and_b32_e32 v9, 16, v0
	s_waitcnt lgkmcnt(0)
	v_add_co_u32 v4, vcc_lo, s10, v4
	v_add_co_ci_u32_e32 v5, vcc_lo, s11, v5, vcc_lo
	global_load_b32 v7, v[4:5], off
	s_clause 0x2
	s_load_b32 s7, s[0:1], 0x2c
	s_load_b64 s[2:3], s[0:1], 0x10
	s_load_b64 s[4:5], s[0:1], 0x20
	v_xor_b32_e32 v4, 63, v6
	v_mbcnt_lo_u32_b32 v6, -1, 0
	s_mov_b32 s1, 0
	s_delay_alu instid0(VALU_DEP_2) | instskip(NEXT) | instid1(VALU_DEP_2)
	v_lshrrev_b64 v[4:5], v4, -1
	v_lshl_or_b32 v0, v6, 2, 60
	s_delay_alu instid0(VALU_DEP_2)
	v_lshlrev_b64 v[5:6], v9, v[4:5]
	s_waitcnt lgkmcnt(0)
	s_sub_i32 s6, s7, s6
	s_waitcnt vmcnt(0)
	v_subrev_nc_u32_e32 v9, s7, v7
	s_add_u32 s7, s8, -8
	s_addc_u32 s8, s9, -1
	s_add_u32 s9, s12, -4
	s_addc_u32 s10, s13, -1
	s_branch .LBB16_6
.LBB16_5:                               ;   in Loop: Header=BB16_6 Depth=1
	s_or_b32 exec_lo, exec_lo, s0
	ds_bpermute_b32 v4, v0, v10
	v_add_nc_u32_e32 v3, 16, v3
	s_delay_alu instid0(VALU_DEP_1)
	v_cmp_ge_i32_e32 vcc_lo, v3, v8
	s_or_b32 s1, vcc_lo, s1
	s_waitcnt lgkmcnt(0)
	v_add_nc_u32_e32 v9, v4, v9
	s_and_not1_b32 exec_lo, exec_lo, s1
	s_cbranch_execz .LBB16_8
.LBB16_6:                               ; =>This Inner Loop Header: Depth=1
	v_ashrrev_i32_e32 v4, 31, v3
	s_delay_alu instid0(VALU_DEP_1) | instskip(NEXT) | instid1(VALU_DEP_1)
	v_lshlrev_b64 v[6:7], 3, v[3:4]
	v_add_co_u32 v6, vcc_lo, s2, v6
	s_delay_alu instid0(VALU_DEP_2) | instskip(SKIP_4) | instid1(VALU_DEP_1)
	v_add_co_ci_u32_e32 v7, vcc_lo, s3, v7, vcc_lo
	global_load_b64 v[6:7], v[6:7], off
	s_waitcnt vmcnt(0)
	v_cmp_gt_f64_e32 vcc_lo, 0, v[6:7]
	v_xor_b32_e32 v10, 0x80000000, v7
	v_cndmask_b32_e32 v11, v7, v10, vcc_lo
	v_cndmask_b32_e32 v10, v6, v6, vcc_lo
	s_delay_alu instid0(VALU_DEP_1) | instskip(SKIP_1) | instid1(VALU_DEP_1)
	v_cmp_gt_f64_e32 vcc_lo, v[10:11], v[1:2]
	v_cmp_lt_f64_e64 s0, 0x38100000, v[10:11]
	s_and_b32 s11, vcc_lo, s0
	s_delay_alu instid0(SALU_CYCLE_1) | instskip(NEXT) | instid1(VALU_DEP_1)
	v_cndmask_b32_e64 v10, 0, 1, s11
	v_cmp_ne_u32_e32 vcc_lo, 0, v10
	v_and_b32_e32 v10, vcc_lo, v5
	s_delay_alu instid0(VALU_DEP_1)
	v_bcnt_u32_b32 v10, v10, 0
	s_and_saveexec_b32 s0, s11
	s_cbranch_execz .LBB16_5
; %bb.7:                                ;   in Loop: Header=BB16_6 Depth=1
	v_lshlrev_b64 v[11:12], 2, v[3:4]
	s_delay_alu instid0(VALU_DEP_1) | instskip(NEXT) | instid1(VALU_DEP_2)
	v_add_co_u32 v11, vcc_lo, s4, v11
	v_add_co_ci_u32_e32 v12, vcc_lo, s5, v12, vcc_lo
	global_load_b32 v4, v[11:12], off
	v_ashrrev_i32_e32 v12, 31, v9
	v_add_co_u32 v11, vcc_lo, v9, v10
	s_delay_alu instid0(VALU_DEP_2) | instskip(NEXT) | instid1(VALU_DEP_1)
	v_add_co_ci_u32_e32 v12, vcc_lo, 0, v12, vcc_lo
	v_lshlrev_b64 v[13:14], 3, v[11:12]
	v_lshlrev_b64 v[11:12], 2, v[11:12]
	s_delay_alu instid0(VALU_DEP_2) | instskip(NEXT) | instid1(VALU_DEP_3)
	v_add_co_u32 v13, vcc_lo, s7, v13
	v_add_co_ci_u32_e32 v14, vcc_lo, s8, v14, vcc_lo
	s_delay_alu instid0(VALU_DEP_3) | instskip(NEXT) | instid1(VALU_DEP_4)
	v_add_co_u32 v11, vcc_lo, s9, v11
	v_add_co_ci_u32_e32 v12, vcc_lo, s10, v12, vcc_lo
	s_waitcnt vmcnt(0)
	v_add_nc_u32_e32 v4, s6, v4
	global_store_b64 v[13:14], v[6:7], off
	global_store_b32 v[11:12], v4, off
	s_branch .LBB16_5
.LBB16_8:
	s_nop 0
	s_sendmsg sendmsg(MSG_DEALLOC_VGPRS)
	s_endpgm
	.section	.rodata,"a",@progbits
	.p2align	6, 0x0
	.amdhsa_kernel _ZN9rocsparseL23csr2csr_compress_kernelILi1024ELi64ELi16ELi32EdEEvii21rocsparse_index_base_PKT3_PKiS6_iS1_PS2_S6_PiNS_24const_host_device_scalarIS2_EEb
		.amdhsa_group_segment_fixed_size 0
		.amdhsa_private_segment_fixed_size 0
		.amdhsa_kernarg_size 84
		.amdhsa_user_sgpr_count 15
		.amdhsa_user_sgpr_dispatch_ptr 0
		.amdhsa_user_sgpr_queue_ptr 0
		.amdhsa_user_sgpr_kernarg_segment_ptr 1
		.amdhsa_user_sgpr_dispatch_id 0
		.amdhsa_user_sgpr_private_segment_size 0
		.amdhsa_wavefront_size32 1
		.amdhsa_uses_dynamic_stack 0
		.amdhsa_enable_private_segment 0
		.amdhsa_system_sgpr_workgroup_id_x 1
		.amdhsa_system_sgpr_workgroup_id_y 0
		.amdhsa_system_sgpr_workgroup_id_z 0
		.amdhsa_system_sgpr_workgroup_info 0
		.amdhsa_system_vgpr_workitem_id 0
		.amdhsa_next_free_vgpr 15
		.amdhsa_next_free_sgpr 16
		.amdhsa_reserve_vcc 1
		.amdhsa_float_round_mode_32 0
		.amdhsa_float_round_mode_16_64 0
		.amdhsa_float_denorm_mode_32 3
		.amdhsa_float_denorm_mode_16_64 3
		.amdhsa_dx10_clamp 1
		.amdhsa_ieee_mode 1
		.amdhsa_fp16_overflow 0
		.amdhsa_workgroup_processor_mode 1
		.amdhsa_memory_ordered 1
		.amdhsa_forward_progress 0
		.amdhsa_shared_vgpr_count 0
		.amdhsa_exception_fp_ieee_invalid_op 0
		.amdhsa_exception_fp_denorm_src 0
		.amdhsa_exception_fp_ieee_div_zero 0
		.amdhsa_exception_fp_ieee_overflow 0
		.amdhsa_exception_fp_ieee_underflow 0
		.amdhsa_exception_fp_ieee_inexact 0
		.amdhsa_exception_int_div_zero 0
	.end_amdhsa_kernel
	.section	.text._ZN9rocsparseL23csr2csr_compress_kernelILi1024ELi64ELi16ELi32EdEEvii21rocsparse_index_base_PKT3_PKiS6_iS1_PS2_S6_PiNS_24const_host_device_scalarIS2_EEb,"axG",@progbits,_ZN9rocsparseL23csr2csr_compress_kernelILi1024ELi64ELi16ELi32EdEEvii21rocsparse_index_base_PKT3_PKiS6_iS1_PS2_S6_PiNS_24const_host_device_scalarIS2_EEb,comdat
.Lfunc_end16:
	.size	_ZN9rocsparseL23csr2csr_compress_kernelILi1024ELi64ELi16ELi32EdEEvii21rocsparse_index_base_PKT3_PKiS6_iS1_PS2_S6_PiNS_24const_host_device_scalarIS2_EEb, .Lfunc_end16-_ZN9rocsparseL23csr2csr_compress_kernelILi1024ELi64ELi16ELi32EdEEvii21rocsparse_index_base_PKT3_PKiS6_iS1_PS2_S6_PiNS_24const_host_device_scalarIS2_EEb
                                        ; -- End function
	.section	.AMDGPU.csdata,"",@progbits
; Kernel info:
; codeLenInByte = 680
; NumSgprs: 18
; NumVgprs: 15
; ScratchSize: 0
; MemoryBound: 0
; FloatMode: 240
; IeeeMode: 1
; LDSByteSize: 0 bytes/workgroup (compile time only)
; SGPRBlocks: 2
; VGPRBlocks: 1
; NumSGPRsForWavesPerEU: 18
; NumVGPRsForWavesPerEU: 15
; Occupancy: 16
; WaveLimiterHint : 0
; COMPUTE_PGM_RSRC2:SCRATCH_EN: 0
; COMPUTE_PGM_RSRC2:USER_SGPR: 15
; COMPUTE_PGM_RSRC2:TRAP_HANDLER: 0
; COMPUTE_PGM_RSRC2:TGID_X_EN: 1
; COMPUTE_PGM_RSRC2:TGID_Y_EN: 0
; COMPUTE_PGM_RSRC2:TGID_Z_EN: 0
; COMPUTE_PGM_RSRC2:TIDIG_COMP_CNT: 0
	.section	.text._ZN9rocsparseL23csr2csr_compress_kernelILi1024ELi32ELi32ELi32EdEEvii21rocsparse_index_base_PKT3_PKiS6_iS1_PS2_S6_PiNS_24const_host_device_scalarIS2_EEb,"axG",@progbits,_ZN9rocsparseL23csr2csr_compress_kernelILi1024ELi32ELi32ELi32EdEEvii21rocsparse_index_base_PKT3_PKiS6_iS1_PS2_S6_PiNS_24const_host_device_scalarIS2_EEb,comdat
	.globl	_ZN9rocsparseL23csr2csr_compress_kernelILi1024ELi32ELi32ELi32EdEEvii21rocsparse_index_base_PKT3_PKiS6_iS1_PS2_S6_PiNS_24const_host_device_scalarIS2_EEb ; -- Begin function _ZN9rocsparseL23csr2csr_compress_kernelILi1024ELi32ELi32ELi32EdEEvii21rocsparse_index_base_PKT3_PKiS6_iS1_PS2_S6_PiNS_24const_host_device_scalarIS2_EEb
	.p2align	8
	.type	_ZN9rocsparseL23csr2csr_compress_kernelILi1024ELi32ELi32ELi32EdEEvii21rocsparse_index_base_PKT3_PKiS6_iS1_PS2_S6_PiNS_24const_host_device_scalarIS2_EEb,@function
_ZN9rocsparseL23csr2csr_compress_kernelILi1024ELi32ELi32ELi32EdEEvii21rocsparse_index_base_PKT3_PKiS6_iS1_PS2_S6_PiNS_24const_host_device_scalarIS2_EEb: ; @_ZN9rocsparseL23csr2csr_compress_kernelILi1024ELi32ELi32ELi32EdEEvii21rocsparse_index_base_PKT3_PKiS6_iS1_PS2_S6_PiNS_24const_host_device_scalarIS2_EEb
; %bb.0:
	s_clause 0x1
	s_load_b32 s4, s[0:1], 0x50
	s_load_b64 s[2:3], s[0:1], 0x48
	s_waitcnt lgkmcnt(0)
	s_bitcmp1_b32 s4, 0
	v_dual_mov_b32 v1, s2 :: v_dual_mov_b32 v2, s3
	s_cselect_b32 s4, -1, 0
	s_delay_alu instid0(SALU_CYCLE_1)
	s_and_b32 vcc_lo, exec_lo, s4
	s_cbranch_vccnz .LBB17_2
; %bb.1:
	v_dual_mov_b32 v1, s2 :: v_dual_mov_b32 v2, s3
	flat_load_b64 v[1:2], v[1:2]
.LBB17_2:
	s_load_b32 s2, s[0:1], 0x0
	v_lshrrev_b32_e32 v3, 5, v0
	s_delay_alu instid0(VALU_DEP_1) | instskip(SKIP_1) | instid1(VALU_DEP_1)
	v_lshl_or_b32 v3, s15, 5, v3
	s_waitcnt lgkmcnt(0)
	v_cmp_gt_i32_e32 vcc_lo, s2, v3
	s_and_saveexec_b32 s2, vcc_lo
	s_cbranch_execz .LBB17_8
; %bb.3:
	s_clause 0x1
	s_load_b64 s[2:3], s[0:1], 0x18
	s_load_b32 s6, s[0:1], 0x8
	v_ashrrev_i32_e32 v4, 31, v3
	s_delay_alu instid0(VALU_DEP_1) | instskip(SKIP_1) | instid1(VALU_DEP_1)
	v_lshlrev_b64 v[4:5], 2, v[3:4]
	s_waitcnt lgkmcnt(0)
	v_add_co_u32 v6, vcc_lo, s2, v4
	s_delay_alu instid0(VALU_DEP_2) | instskip(SKIP_2) | instid1(VALU_DEP_1)
	v_add_co_ci_u32_e32 v7, vcc_lo, s3, v5, vcc_lo
	global_load_b64 v[7:8], v[6:7], off
	v_and_b32_e32 v6, 31, v0
	v_subrev_nc_u32_e32 v3, s6, v6
	s_waitcnt vmcnt(0)
	v_subrev_nc_u32_e32 v0, s6, v8
	s_delay_alu instid0(VALU_DEP_2) | instskip(NEXT) | instid1(VALU_DEP_1)
	v_add_nc_u32_e32 v3, v7, v3
	v_cmp_lt_i32_e32 vcc_lo, v3, v0
	s_and_b32 exec_lo, exec_lo, vcc_lo
	s_cbranch_execz .LBB17_8
; %bb.4:
	s_clause 0x1
	s_load_b128 s[8:11], s[0:1], 0x30
	s_load_b64 s[12:13], s[0:1], 0x40
	v_mov_b32_e32 v8, 0x7c
	s_waitcnt lgkmcnt(0)
	v_add_co_u32 v4, vcc_lo, s10, v4
	v_add_co_ci_u32_e32 v5, vcc_lo, s11, v5, vcc_lo
	s_mov_b32 s10, 0
	global_load_b32 v4, v[4:5], off
	s_clause 0x2
	s_load_b32 s7, s[0:1], 0x2c
	s_load_b64 s[2:3], s[0:1], 0x10
	s_load_b64 s[4:5], s[0:1], 0x20
	v_xor_b32_e32 v5, 63, v6
	s_delay_alu instid0(VALU_DEP_1)
	v_lshrrev_b64 v[5:6], v5, -1
	s_waitcnt lgkmcnt(0)
	s_sub_i32 s1, s7, s6
	s_add_u32 s6, s8, -8
	s_waitcnt vmcnt(0)
	v_subrev_nc_u32_e32 v9, s7, v4
	s_addc_u32 s7, s9, -1
	s_add_u32 s8, s12, -4
	s_addc_u32 s9, s13, -1
	s_branch .LBB17_6
.LBB17_5:                               ;   in Loop: Header=BB17_6 Depth=1
	s_or_b32 exec_lo, exec_lo, s0
	ds_bpermute_b32 v4, v8, v10
	v_add_nc_u32_e32 v3, 32, v3
	s_delay_alu instid0(VALU_DEP_1)
	v_cmp_ge_i32_e32 vcc_lo, v3, v0
	s_or_b32 s10, vcc_lo, s10
	s_waitcnt lgkmcnt(0)
	v_add_nc_u32_e32 v9, v4, v9
	s_and_not1_b32 exec_lo, exec_lo, s10
	s_cbranch_execz .LBB17_8
.LBB17_6:                               ; =>This Inner Loop Header: Depth=1
	v_ashrrev_i32_e32 v4, 31, v3
	s_delay_alu instid0(VALU_DEP_1) | instskip(NEXT) | instid1(VALU_DEP_1)
	v_lshlrev_b64 v[6:7], 3, v[3:4]
	v_add_co_u32 v6, vcc_lo, s2, v6
	s_delay_alu instid0(VALU_DEP_2) | instskip(SKIP_4) | instid1(VALU_DEP_1)
	v_add_co_ci_u32_e32 v7, vcc_lo, s3, v7, vcc_lo
	global_load_b64 v[6:7], v[6:7], off
	s_waitcnt vmcnt(0)
	v_cmp_gt_f64_e32 vcc_lo, 0, v[6:7]
	v_xor_b32_e32 v10, 0x80000000, v7
	v_cndmask_b32_e32 v11, v7, v10, vcc_lo
	v_cndmask_b32_e32 v10, v6, v6, vcc_lo
	s_delay_alu instid0(VALU_DEP_1) | instskip(SKIP_1) | instid1(VALU_DEP_1)
	v_cmp_gt_f64_e32 vcc_lo, v[10:11], v[1:2]
	v_cmp_lt_f64_e64 s0, 0x38100000, v[10:11]
	s_and_b32 s11, vcc_lo, s0
	s_delay_alu instid0(SALU_CYCLE_1) | instskip(NEXT) | instid1(VALU_DEP_1)
	v_cndmask_b32_e64 v10, 0, 1, s11
	v_cmp_ne_u32_e32 vcc_lo, 0, v10
	v_and_b32_e32 v10, vcc_lo, v5
	s_delay_alu instid0(VALU_DEP_1)
	v_bcnt_u32_b32 v10, v10, 0
	s_and_saveexec_b32 s0, s11
	s_cbranch_execz .LBB17_5
; %bb.7:                                ;   in Loop: Header=BB17_6 Depth=1
	v_lshlrev_b64 v[11:12], 2, v[3:4]
	s_delay_alu instid0(VALU_DEP_1) | instskip(NEXT) | instid1(VALU_DEP_2)
	v_add_co_u32 v11, vcc_lo, s4, v11
	v_add_co_ci_u32_e32 v12, vcc_lo, s5, v12, vcc_lo
	global_load_b32 v4, v[11:12], off
	v_ashrrev_i32_e32 v12, 31, v9
	v_add_co_u32 v11, vcc_lo, v9, v10
	s_delay_alu instid0(VALU_DEP_2) | instskip(NEXT) | instid1(VALU_DEP_1)
	v_add_co_ci_u32_e32 v12, vcc_lo, 0, v12, vcc_lo
	v_lshlrev_b64 v[13:14], 3, v[11:12]
	v_lshlrev_b64 v[11:12], 2, v[11:12]
	s_delay_alu instid0(VALU_DEP_2) | instskip(NEXT) | instid1(VALU_DEP_3)
	v_add_co_u32 v13, vcc_lo, s6, v13
	v_add_co_ci_u32_e32 v14, vcc_lo, s7, v14, vcc_lo
	s_delay_alu instid0(VALU_DEP_3) | instskip(NEXT) | instid1(VALU_DEP_4)
	v_add_co_u32 v11, vcc_lo, s8, v11
	v_add_co_ci_u32_e32 v12, vcc_lo, s9, v12, vcc_lo
	s_waitcnt vmcnt(0)
	v_add_nc_u32_e32 v4, s1, v4
	global_store_b64 v[13:14], v[6:7], off
	global_store_b32 v[11:12], v4, off
	s_branch .LBB17_5
.LBB17_8:
	s_nop 0
	s_sendmsg sendmsg(MSG_DEALLOC_VGPRS)
	s_endpgm
	.section	.rodata,"a",@progbits
	.p2align	6, 0x0
	.amdhsa_kernel _ZN9rocsparseL23csr2csr_compress_kernelILi1024ELi32ELi32ELi32EdEEvii21rocsparse_index_base_PKT3_PKiS6_iS1_PS2_S6_PiNS_24const_host_device_scalarIS2_EEb
		.amdhsa_group_segment_fixed_size 0
		.amdhsa_private_segment_fixed_size 0
		.amdhsa_kernarg_size 84
		.amdhsa_user_sgpr_count 15
		.amdhsa_user_sgpr_dispatch_ptr 0
		.amdhsa_user_sgpr_queue_ptr 0
		.amdhsa_user_sgpr_kernarg_segment_ptr 1
		.amdhsa_user_sgpr_dispatch_id 0
		.amdhsa_user_sgpr_private_segment_size 0
		.amdhsa_wavefront_size32 1
		.amdhsa_uses_dynamic_stack 0
		.amdhsa_enable_private_segment 0
		.amdhsa_system_sgpr_workgroup_id_x 1
		.amdhsa_system_sgpr_workgroup_id_y 0
		.amdhsa_system_sgpr_workgroup_id_z 0
		.amdhsa_system_sgpr_workgroup_info 0
		.amdhsa_system_vgpr_workitem_id 0
		.amdhsa_next_free_vgpr 15
		.amdhsa_next_free_sgpr 16
		.amdhsa_reserve_vcc 1
		.amdhsa_float_round_mode_32 0
		.amdhsa_float_round_mode_16_64 0
		.amdhsa_float_denorm_mode_32 3
		.amdhsa_float_denorm_mode_16_64 3
		.amdhsa_dx10_clamp 1
		.amdhsa_ieee_mode 1
		.amdhsa_fp16_overflow 0
		.amdhsa_workgroup_processor_mode 1
		.amdhsa_memory_ordered 1
		.amdhsa_forward_progress 0
		.amdhsa_shared_vgpr_count 0
		.amdhsa_exception_fp_ieee_invalid_op 0
		.amdhsa_exception_fp_denorm_src 0
		.amdhsa_exception_fp_ieee_div_zero 0
		.amdhsa_exception_fp_ieee_overflow 0
		.amdhsa_exception_fp_ieee_underflow 0
		.amdhsa_exception_fp_ieee_inexact 0
		.amdhsa_exception_int_div_zero 0
	.end_amdhsa_kernel
	.section	.text._ZN9rocsparseL23csr2csr_compress_kernelILi1024ELi32ELi32ELi32EdEEvii21rocsparse_index_base_PKT3_PKiS6_iS1_PS2_S6_PiNS_24const_host_device_scalarIS2_EEb,"axG",@progbits,_ZN9rocsparseL23csr2csr_compress_kernelILi1024ELi32ELi32ELi32EdEEvii21rocsparse_index_base_PKT3_PKiS6_iS1_PS2_S6_PiNS_24const_host_device_scalarIS2_EEb,comdat
.Lfunc_end17:
	.size	_ZN9rocsparseL23csr2csr_compress_kernelILi1024ELi32ELi32ELi32EdEEvii21rocsparse_index_base_PKT3_PKiS6_iS1_PS2_S6_PiNS_24const_host_device_scalarIS2_EEb, .Lfunc_end17-_ZN9rocsparseL23csr2csr_compress_kernelILi1024ELi32ELi32ELi32EdEEvii21rocsparse_index_base_PKT3_PKiS6_iS1_PS2_S6_PiNS_24const_host_device_scalarIS2_EEb
                                        ; -- End function
	.section	.AMDGPU.csdata,"",@progbits
; Kernel info:
; codeLenInByte = 656
; NumSgprs: 18
; NumVgprs: 15
; ScratchSize: 0
; MemoryBound: 0
; FloatMode: 240
; IeeeMode: 1
; LDSByteSize: 0 bytes/workgroup (compile time only)
; SGPRBlocks: 2
; VGPRBlocks: 1
; NumSGPRsForWavesPerEU: 18
; NumVGPRsForWavesPerEU: 15
; Occupancy: 16
; WaveLimiterHint : 0
; COMPUTE_PGM_RSRC2:SCRATCH_EN: 0
; COMPUTE_PGM_RSRC2:USER_SGPR: 15
; COMPUTE_PGM_RSRC2:TRAP_HANDLER: 0
; COMPUTE_PGM_RSRC2:TGID_X_EN: 1
; COMPUTE_PGM_RSRC2:TGID_Y_EN: 0
; COMPUTE_PGM_RSRC2:TGID_Z_EN: 0
; COMPUTE_PGM_RSRC2:TIDIG_COMP_CNT: 0
	.section	.text._ZN9rocsparseL23csr2csr_compress_kernelILi1024ELi512ELi2ELi64EdEEvii21rocsparse_index_base_PKT3_PKiS6_iS1_PS2_S6_PiNS_24const_host_device_scalarIS2_EEb,"axG",@progbits,_ZN9rocsparseL23csr2csr_compress_kernelILi1024ELi512ELi2ELi64EdEEvii21rocsparse_index_base_PKT3_PKiS6_iS1_PS2_S6_PiNS_24const_host_device_scalarIS2_EEb,comdat
	.globl	_ZN9rocsparseL23csr2csr_compress_kernelILi1024ELi512ELi2ELi64EdEEvii21rocsparse_index_base_PKT3_PKiS6_iS1_PS2_S6_PiNS_24const_host_device_scalarIS2_EEb ; -- Begin function _ZN9rocsparseL23csr2csr_compress_kernelILi1024ELi512ELi2ELi64EdEEvii21rocsparse_index_base_PKT3_PKiS6_iS1_PS2_S6_PiNS_24const_host_device_scalarIS2_EEb
	.p2align	8
	.type	_ZN9rocsparseL23csr2csr_compress_kernelILi1024ELi512ELi2ELi64EdEEvii21rocsparse_index_base_PKT3_PKiS6_iS1_PS2_S6_PiNS_24const_host_device_scalarIS2_EEb,@function
_ZN9rocsparseL23csr2csr_compress_kernelILi1024ELi512ELi2ELi64EdEEvii21rocsparse_index_base_PKT3_PKiS6_iS1_PS2_S6_PiNS_24const_host_device_scalarIS2_EEb: ; @_ZN9rocsparseL23csr2csr_compress_kernelILi1024ELi512ELi2ELi64EdEEvii21rocsparse_index_base_PKT3_PKiS6_iS1_PS2_S6_PiNS_24const_host_device_scalarIS2_EEb
; %bb.0:
	s_clause 0x1
	s_load_b32 s4, s[0:1], 0x50
	s_load_b64 s[2:3], s[0:1], 0x48
	s_waitcnt lgkmcnt(0)
	s_bitcmp1_b32 s4, 0
	v_dual_mov_b32 v1, s2 :: v_dual_mov_b32 v2, s3
	s_cselect_b32 s4, -1, 0
	s_delay_alu instid0(SALU_CYCLE_1)
	s_and_b32 vcc_lo, exec_lo, s4
	s_cbranch_vccnz .LBB18_2
; %bb.1:
	v_dual_mov_b32 v1, s2 :: v_dual_mov_b32 v2, s3
	flat_load_b64 v[1:2], v[1:2]
.LBB18_2:
	s_load_b32 s2, s[0:1], 0x0
	v_lshrrev_b32_e32 v3, 1, v0
	s_delay_alu instid0(VALU_DEP_1) | instskip(SKIP_1) | instid1(VALU_DEP_1)
	v_lshl_or_b32 v3, s15, 9, v3
	s_waitcnt lgkmcnt(0)
	v_cmp_gt_i32_e32 vcc_lo, s2, v3
	s_and_saveexec_b32 s2, vcc_lo
	s_cbranch_execz .LBB18_8
; %bb.3:
	s_clause 0x1
	s_load_b64 s[2:3], s[0:1], 0x18
	s_load_b32 s6, s[0:1], 0x8
	v_ashrrev_i32_e32 v4, 31, v3
	s_delay_alu instid0(VALU_DEP_1) | instskip(SKIP_1) | instid1(VALU_DEP_1)
	v_lshlrev_b64 v[4:5], 2, v[3:4]
	s_waitcnt lgkmcnt(0)
	v_add_co_u32 v6, vcc_lo, s2, v4
	s_delay_alu instid0(VALU_DEP_2) | instskip(SKIP_2) | instid1(VALU_DEP_1)
	v_add_co_ci_u32_e32 v7, vcc_lo, s3, v5, vcc_lo
	global_load_b64 v[7:8], v[6:7], off
	v_and_b32_e32 v6, 1, v0
	v_subrev_nc_u32_e32 v3, s6, v6
	s_waitcnt vmcnt(0)
	v_subrev_nc_u32_e32 v8, s6, v8
	s_delay_alu instid0(VALU_DEP_2) | instskip(NEXT) | instid1(VALU_DEP_1)
	v_add_nc_u32_e32 v3, v7, v3
	v_cmp_lt_i32_e32 vcc_lo, v3, v8
	s_and_b32 exec_lo, exec_lo, vcc_lo
	s_cbranch_execz .LBB18_8
; %bb.4:
	s_clause 0x1
	s_load_b128 s[8:11], s[0:1], 0x30
	s_load_b64 s[12:13], s[0:1], 0x40
	v_and_b32_e32 v9, 62, v0
	s_waitcnt lgkmcnt(0)
	v_add_co_u32 v4, vcc_lo, s10, v4
	v_add_co_ci_u32_e32 v5, vcc_lo, s11, v5, vcc_lo
	global_load_b32 v7, v[4:5], off
	s_clause 0x2
	s_load_b32 s7, s[0:1], 0x2c
	s_load_b64 s[2:3], s[0:1], 0x10
	s_load_b64 s[4:5], s[0:1], 0x20
	v_xor_b32_e32 v4, 63, v6
	v_mbcnt_lo_u32_b32 v6, -1, 0
	s_mov_b32 s1, 0
	s_delay_alu instid0(VALU_DEP_2) | instskip(NEXT) | instid1(VALU_DEP_2)
	v_lshrrev_b64 v[4:5], v4, -1
	v_lshl_or_b32 v0, v6, 2, 4
	s_delay_alu instid0(VALU_DEP_2)
	v_lshlrev_b64 v[5:6], v9, v[4:5]
	s_waitcnt lgkmcnt(0)
	s_sub_i32 s6, s7, s6
	s_waitcnt vmcnt(0)
	v_subrev_nc_u32_e32 v9, s7, v7
	s_add_u32 s7, s8, -8
	s_addc_u32 s8, s9, -1
	s_add_u32 s9, s12, -4
	s_addc_u32 s10, s13, -1
	s_branch .LBB18_6
.LBB18_5:                               ;   in Loop: Header=BB18_6 Depth=1
	s_or_b32 exec_lo, exec_lo, s0
	ds_bpermute_b32 v4, v0, v10
	v_add_nc_u32_e32 v3, 2, v3
	s_delay_alu instid0(VALU_DEP_1)
	v_cmp_ge_i32_e32 vcc_lo, v3, v8
	s_or_b32 s1, vcc_lo, s1
	s_waitcnt lgkmcnt(0)
	v_add_nc_u32_e32 v9, v4, v9
	s_and_not1_b32 exec_lo, exec_lo, s1
	s_cbranch_execz .LBB18_8
.LBB18_6:                               ; =>This Inner Loop Header: Depth=1
	v_ashrrev_i32_e32 v4, 31, v3
	s_delay_alu instid0(VALU_DEP_1) | instskip(NEXT) | instid1(VALU_DEP_1)
	v_lshlrev_b64 v[6:7], 3, v[3:4]
	v_add_co_u32 v6, vcc_lo, s2, v6
	s_delay_alu instid0(VALU_DEP_2) | instskip(SKIP_4) | instid1(VALU_DEP_1)
	v_add_co_ci_u32_e32 v7, vcc_lo, s3, v7, vcc_lo
	global_load_b64 v[6:7], v[6:7], off
	s_waitcnt vmcnt(0)
	v_cmp_gt_f64_e32 vcc_lo, 0, v[6:7]
	v_xor_b32_e32 v10, 0x80000000, v7
	v_cndmask_b32_e32 v11, v7, v10, vcc_lo
	v_cndmask_b32_e32 v10, v6, v6, vcc_lo
	s_delay_alu instid0(VALU_DEP_1) | instskip(SKIP_1) | instid1(VALU_DEP_1)
	v_cmp_gt_f64_e32 vcc_lo, v[10:11], v[1:2]
	v_cmp_lt_f64_e64 s0, 0x38100000, v[10:11]
	s_and_b32 s11, vcc_lo, s0
	s_delay_alu instid0(SALU_CYCLE_1) | instskip(NEXT) | instid1(VALU_DEP_1)
	v_cndmask_b32_e64 v10, 0, 1, s11
	v_cmp_ne_u32_e32 vcc_lo, 0, v10
	v_and_b32_e32 v10, vcc_lo, v5
	s_delay_alu instid0(VALU_DEP_1)
	v_bcnt_u32_b32 v10, v10, 0
	s_and_saveexec_b32 s0, s11
	s_cbranch_execz .LBB18_5
; %bb.7:                                ;   in Loop: Header=BB18_6 Depth=1
	v_lshlrev_b64 v[11:12], 2, v[3:4]
	s_delay_alu instid0(VALU_DEP_1) | instskip(NEXT) | instid1(VALU_DEP_2)
	v_add_co_u32 v11, vcc_lo, s4, v11
	v_add_co_ci_u32_e32 v12, vcc_lo, s5, v12, vcc_lo
	global_load_b32 v4, v[11:12], off
	v_ashrrev_i32_e32 v12, 31, v9
	v_add_co_u32 v11, vcc_lo, v9, v10
	s_delay_alu instid0(VALU_DEP_2) | instskip(NEXT) | instid1(VALU_DEP_1)
	v_add_co_ci_u32_e32 v12, vcc_lo, 0, v12, vcc_lo
	v_lshlrev_b64 v[13:14], 3, v[11:12]
	v_lshlrev_b64 v[11:12], 2, v[11:12]
	s_delay_alu instid0(VALU_DEP_2) | instskip(NEXT) | instid1(VALU_DEP_3)
	v_add_co_u32 v13, vcc_lo, s7, v13
	v_add_co_ci_u32_e32 v14, vcc_lo, s8, v14, vcc_lo
	s_delay_alu instid0(VALU_DEP_3) | instskip(NEXT) | instid1(VALU_DEP_4)
	v_add_co_u32 v11, vcc_lo, s9, v11
	v_add_co_ci_u32_e32 v12, vcc_lo, s10, v12, vcc_lo
	s_waitcnt vmcnt(0)
	v_add_nc_u32_e32 v4, s6, v4
	global_store_b64 v[13:14], v[6:7], off
	global_store_b32 v[11:12], v4, off
	s_branch .LBB18_5
.LBB18_8:
	s_nop 0
	s_sendmsg sendmsg(MSG_DEALLOC_VGPRS)
	s_endpgm
	.section	.rodata,"a",@progbits
	.p2align	6, 0x0
	.amdhsa_kernel _ZN9rocsparseL23csr2csr_compress_kernelILi1024ELi512ELi2ELi64EdEEvii21rocsparse_index_base_PKT3_PKiS6_iS1_PS2_S6_PiNS_24const_host_device_scalarIS2_EEb
		.amdhsa_group_segment_fixed_size 0
		.amdhsa_private_segment_fixed_size 0
		.amdhsa_kernarg_size 84
		.amdhsa_user_sgpr_count 15
		.amdhsa_user_sgpr_dispatch_ptr 0
		.amdhsa_user_sgpr_queue_ptr 0
		.amdhsa_user_sgpr_kernarg_segment_ptr 1
		.amdhsa_user_sgpr_dispatch_id 0
		.amdhsa_user_sgpr_private_segment_size 0
		.amdhsa_wavefront_size32 1
		.amdhsa_uses_dynamic_stack 0
		.amdhsa_enable_private_segment 0
		.amdhsa_system_sgpr_workgroup_id_x 1
		.amdhsa_system_sgpr_workgroup_id_y 0
		.amdhsa_system_sgpr_workgroup_id_z 0
		.amdhsa_system_sgpr_workgroup_info 0
		.amdhsa_system_vgpr_workitem_id 0
		.amdhsa_next_free_vgpr 15
		.amdhsa_next_free_sgpr 16
		.amdhsa_reserve_vcc 1
		.amdhsa_float_round_mode_32 0
		.amdhsa_float_round_mode_16_64 0
		.amdhsa_float_denorm_mode_32 3
		.amdhsa_float_denorm_mode_16_64 3
		.amdhsa_dx10_clamp 1
		.amdhsa_ieee_mode 1
		.amdhsa_fp16_overflow 0
		.amdhsa_workgroup_processor_mode 1
		.amdhsa_memory_ordered 1
		.amdhsa_forward_progress 0
		.amdhsa_shared_vgpr_count 0
		.amdhsa_exception_fp_ieee_invalid_op 0
		.amdhsa_exception_fp_denorm_src 0
		.amdhsa_exception_fp_ieee_div_zero 0
		.amdhsa_exception_fp_ieee_overflow 0
		.amdhsa_exception_fp_ieee_underflow 0
		.amdhsa_exception_fp_ieee_inexact 0
		.amdhsa_exception_int_div_zero 0
	.end_amdhsa_kernel
	.section	.text._ZN9rocsparseL23csr2csr_compress_kernelILi1024ELi512ELi2ELi64EdEEvii21rocsparse_index_base_PKT3_PKiS6_iS1_PS2_S6_PiNS_24const_host_device_scalarIS2_EEb,"axG",@progbits,_ZN9rocsparseL23csr2csr_compress_kernelILi1024ELi512ELi2ELi64EdEEvii21rocsparse_index_base_PKT3_PKiS6_iS1_PS2_S6_PiNS_24const_host_device_scalarIS2_EEb,comdat
.Lfunc_end18:
	.size	_ZN9rocsparseL23csr2csr_compress_kernelILi1024ELi512ELi2ELi64EdEEvii21rocsparse_index_base_PKT3_PKiS6_iS1_PS2_S6_PiNS_24const_host_device_scalarIS2_EEb, .Lfunc_end18-_ZN9rocsparseL23csr2csr_compress_kernelILi1024ELi512ELi2ELi64EdEEvii21rocsparse_index_base_PKT3_PKiS6_iS1_PS2_S6_PiNS_24const_host_device_scalarIS2_EEb
                                        ; -- End function
	.section	.AMDGPU.csdata,"",@progbits
; Kernel info:
; codeLenInByte = 680
; NumSgprs: 18
; NumVgprs: 15
; ScratchSize: 0
; MemoryBound: 0
; FloatMode: 240
; IeeeMode: 1
; LDSByteSize: 0 bytes/workgroup (compile time only)
; SGPRBlocks: 2
; VGPRBlocks: 1
; NumSGPRsForWavesPerEU: 18
; NumVGPRsForWavesPerEU: 15
; Occupancy: 16
; WaveLimiterHint : 0
; COMPUTE_PGM_RSRC2:SCRATCH_EN: 0
; COMPUTE_PGM_RSRC2:USER_SGPR: 15
; COMPUTE_PGM_RSRC2:TRAP_HANDLER: 0
; COMPUTE_PGM_RSRC2:TGID_X_EN: 1
; COMPUTE_PGM_RSRC2:TGID_Y_EN: 0
; COMPUTE_PGM_RSRC2:TGID_Z_EN: 0
; COMPUTE_PGM_RSRC2:TIDIG_COMP_CNT: 0
	.section	.text._ZN9rocsparseL23csr2csr_compress_kernelILi1024ELi256ELi4ELi64EdEEvii21rocsparse_index_base_PKT3_PKiS6_iS1_PS2_S6_PiNS_24const_host_device_scalarIS2_EEb,"axG",@progbits,_ZN9rocsparseL23csr2csr_compress_kernelILi1024ELi256ELi4ELi64EdEEvii21rocsparse_index_base_PKT3_PKiS6_iS1_PS2_S6_PiNS_24const_host_device_scalarIS2_EEb,comdat
	.globl	_ZN9rocsparseL23csr2csr_compress_kernelILi1024ELi256ELi4ELi64EdEEvii21rocsparse_index_base_PKT3_PKiS6_iS1_PS2_S6_PiNS_24const_host_device_scalarIS2_EEb ; -- Begin function _ZN9rocsparseL23csr2csr_compress_kernelILi1024ELi256ELi4ELi64EdEEvii21rocsparse_index_base_PKT3_PKiS6_iS1_PS2_S6_PiNS_24const_host_device_scalarIS2_EEb
	.p2align	8
	.type	_ZN9rocsparseL23csr2csr_compress_kernelILi1024ELi256ELi4ELi64EdEEvii21rocsparse_index_base_PKT3_PKiS6_iS1_PS2_S6_PiNS_24const_host_device_scalarIS2_EEb,@function
_ZN9rocsparseL23csr2csr_compress_kernelILi1024ELi256ELi4ELi64EdEEvii21rocsparse_index_base_PKT3_PKiS6_iS1_PS2_S6_PiNS_24const_host_device_scalarIS2_EEb: ; @_ZN9rocsparseL23csr2csr_compress_kernelILi1024ELi256ELi4ELi64EdEEvii21rocsparse_index_base_PKT3_PKiS6_iS1_PS2_S6_PiNS_24const_host_device_scalarIS2_EEb
; %bb.0:
	s_clause 0x1
	s_load_b32 s4, s[0:1], 0x50
	s_load_b64 s[2:3], s[0:1], 0x48
	s_waitcnt lgkmcnt(0)
	s_bitcmp1_b32 s4, 0
	v_dual_mov_b32 v1, s2 :: v_dual_mov_b32 v2, s3
	s_cselect_b32 s4, -1, 0
	s_delay_alu instid0(SALU_CYCLE_1)
	s_and_b32 vcc_lo, exec_lo, s4
	s_cbranch_vccnz .LBB19_2
; %bb.1:
	v_dual_mov_b32 v1, s2 :: v_dual_mov_b32 v2, s3
	flat_load_b64 v[1:2], v[1:2]
.LBB19_2:
	s_load_b32 s2, s[0:1], 0x0
	v_lshrrev_b32_e32 v3, 2, v0
	s_delay_alu instid0(VALU_DEP_1) | instskip(SKIP_1) | instid1(VALU_DEP_1)
	v_lshl_or_b32 v3, s15, 8, v3
	s_waitcnt lgkmcnt(0)
	v_cmp_gt_i32_e32 vcc_lo, s2, v3
	s_and_saveexec_b32 s2, vcc_lo
	s_cbranch_execz .LBB19_8
; %bb.3:
	s_clause 0x1
	s_load_b64 s[2:3], s[0:1], 0x18
	s_load_b32 s6, s[0:1], 0x8
	v_ashrrev_i32_e32 v4, 31, v3
	s_delay_alu instid0(VALU_DEP_1) | instskip(SKIP_1) | instid1(VALU_DEP_1)
	v_lshlrev_b64 v[4:5], 2, v[3:4]
	s_waitcnt lgkmcnt(0)
	v_add_co_u32 v6, vcc_lo, s2, v4
	s_delay_alu instid0(VALU_DEP_2) | instskip(SKIP_2) | instid1(VALU_DEP_1)
	v_add_co_ci_u32_e32 v7, vcc_lo, s3, v5, vcc_lo
	global_load_b64 v[7:8], v[6:7], off
	v_and_b32_e32 v6, 3, v0
	v_subrev_nc_u32_e32 v3, s6, v6
	s_waitcnt vmcnt(0)
	v_subrev_nc_u32_e32 v8, s6, v8
	s_delay_alu instid0(VALU_DEP_2) | instskip(NEXT) | instid1(VALU_DEP_1)
	v_add_nc_u32_e32 v3, v7, v3
	v_cmp_lt_i32_e32 vcc_lo, v3, v8
	s_and_b32 exec_lo, exec_lo, vcc_lo
	s_cbranch_execz .LBB19_8
; %bb.4:
	s_clause 0x1
	s_load_b128 s[8:11], s[0:1], 0x30
	s_load_b64 s[12:13], s[0:1], 0x40
	v_and_b32_e32 v9, 60, v0
	s_waitcnt lgkmcnt(0)
	v_add_co_u32 v4, vcc_lo, s10, v4
	v_add_co_ci_u32_e32 v5, vcc_lo, s11, v5, vcc_lo
	global_load_b32 v7, v[4:5], off
	s_clause 0x2
	s_load_b32 s7, s[0:1], 0x2c
	s_load_b64 s[2:3], s[0:1], 0x10
	s_load_b64 s[4:5], s[0:1], 0x20
	v_xor_b32_e32 v4, 63, v6
	v_mbcnt_lo_u32_b32 v6, -1, 0
	s_mov_b32 s1, 0
	s_delay_alu instid0(VALU_DEP_2) | instskip(NEXT) | instid1(VALU_DEP_2)
	v_lshrrev_b64 v[4:5], v4, -1
	v_lshl_or_b32 v0, v6, 2, 12
	s_delay_alu instid0(VALU_DEP_2)
	v_lshlrev_b64 v[5:6], v9, v[4:5]
	s_waitcnt lgkmcnt(0)
	s_sub_i32 s6, s7, s6
	s_waitcnt vmcnt(0)
	v_subrev_nc_u32_e32 v9, s7, v7
	s_add_u32 s7, s8, -8
	s_addc_u32 s8, s9, -1
	s_add_u32 s9, s12, -4
	s_addc_u32 s10, s13, -1
	s_branch .LBB19_6
.LBB19_5:                               ;   in Loop: Header=BB19_6 Depth=1
	s_or_b32 exec_lo, exec_lo, s0
	ds_bpermute_b32 v4, v0, v10
	v_add_nc_u32_e32 v3, 4, v3
	s_delay_alu instid0(VALU_DEP_1)
	v_cmp_ge_i32_e32 vcc_lo, v3, v8
	s_or_b32 s1, vcc_lo, s1
	s_waitcnt lgkmcnt(0)
	v_add_nc_u32_e32 v9, v4, v9
	s_and_not1_b32 exec_lo, exec_lo, s1
	s_cbranch_execz .LBB19_8
.LBB19_6:                               ; =>This Inner Loop Header: Depth=1
	v_ashrrev_i32_e32 v4, 31, v3
	s_delay_alu instid0(VALU_DEP_1) | instskip(NEXT) | instid1(VALU_DEP_1)
	v_lshlrev_b64 v[6:7], 3, v[3:4]
	v_add_co_u32 v6, vcc_lo, s2, v6
	s_delay_alu instid0(VALU_DEP_2) | instskip(SKIP_4) | instid1(VALU_DEP_1)
	v_add_co_ci_u32_e32 v7, vcc_lo, s3, v7, vcc_lo
	global_load_b64 v[6:7], v[6:7], off
	s_waitcnt vmcnt(0)
	v_cmp_gt_f64_e32 vcc_lo, 0, v[6:7]
	v_xor_b32_e32 v10, 0x80000000, v7
	v_cndmask_b32_e32 v11, v7, v10, vcc_lo
	v_cndmask_b32_e32 v10, v6, v6, vcc_lo
	s_delay_alu instid0(VALU_DEP_1) | instskip(SKIP_1) | instid1(VALU_DEP_1)
	v_cmp_gt_f64_e32 vcc_lo, v[10:11], v[1:2]
	v_cmp_lt_f64_e64 s0, 0x38100000, v[10:11]
	s_and_b32 s11, vcc_lo, s0
	s_delay_alu instid0(SALU_CYCLE_1) | instskip(NEXT) | instid1(VALU_DEP_1)
	v_cndmask_b32_e64 v10, 0, 1, s11
	v_cmp_ne_u32_e32 vcc_lo, 0, v10
	v_and_b32_e32 v10, vcc_lo, v5
	s_delay_alu instid0(VALU_DEP_1)
	v_bcnt_u32_b32 v10, v10, 0
	s_and_saveexec_b32 s0, s11
	s_cbranch_execz .LBB19_5
; %bb.7:                                ;   in Loop: Header=BB19_6 Depth=1
	v_lshlrev_b64 v[11:12], 2, v[3:4]
	s_delay_alu instid0(VALU_DEP_1) | instskip(NEXT) | instid1(VALU_DEP_2)
	v_add_co_u32 v11, vcc_lo, s4, v11
	v_add_co_ci_u32_e32 v12, vcc_lo, s5, v12, vcc_lo
	global_load_b32 v4, v[11:12], off
	v_ashrrev_i32_e32 v12, 31, v9
	v_add_co_u32 v11, vcc_lo, v9, v10
	s_delay_alu instid0(VALU_DEP_2) | instskip(NEXT) | instid1(VALU_DEP_1)
	v_add_co_ci_u32_e32 v12, vcc_lo, 0, v12, vcc_lo
	v_lshlrev_b64 v[13:14], 3, v[11:12]
	v_lshlrev_b64 v[11:12], 2, v[11:12]
	s_delay_alu instid0(VALU_DEP_2) | instskip(NEXT) | instid1(VALU_DEP_3)
	v_add_co_u32 v13, vcc_lo, s7, v13
	v_add_co_ci_u32_e32 v14, vcc_lo, s8, v14, vcc_lo
	s_delay_alu instid0(VALU_DEP_3) | instskip(NEXT) | instid1(VALU_DEP_4)
	v_add_co_u32 v11, vcc_lo, s9, v11
	v_add_co_ci_u32_e32 v12, vcc_lo, s10, v12, vcc_lo
	s_waitcnt vmcnt(0)
	v_add_nc_u32_e32 v4, s6, v4
	global_store_b64 v[13:14], v[6:7], off
	global_store_b32 v[11:12], v4, off
	s_branch .LBB19_5
.LBB19_8:
	s_nop 0
	s_sendmsg sendmsg(MSG_DEALLOC_VGPRS)
	s_endpgm
	.section	.rodata,"a",@progbits
	.p2align	6, 0x0
	.amdhsa_kernel _ZN9rocsparseL23csr2csr_compress_kernelILi1024ELi256ELi4ELi64EdEEvii21rocsparse_index_base_PKT3_PKiS6_iS1_PS2_S6_PiNS_24const_host_device_scalarIS2_EEb
		.amdhsa_group_segment_fixed_size 0
		.amdhsa_private_segment_fixed_size 0
		.amdhsa_kernarg_size 84
		.amdhsa_user_sgpr_count 15
		.amdhsa_user_sgpr_dispatch_ptr 0
		.amdhsa_user_sgpr_queue_ptr 0
		.amdhsa_user_sgpr_kernarg_segment_ptr 1
		.amdhsa_user_sgpr_dispatch_id 0
		.amdhsa_user_sgpr_private_segment_size 0
		.amdhsa_wavefront_size32 1
		.amdhsa_uses_dynamic_stack 0
		.amdhsa_enable_private_segment 0
		.amdhsa_system_sgpr_workgroup_id_x 1
		.amdhsa_system_sgpr_workgroup_id_y 0
		.amdhsa_system_sgpr_workgroup_id_z 0
		.amdhsa_system_sgpr_workgroup_info 0
		.amdhsa_system_vgpr_workitem_id 0
		.amdhsa_next_free_vgpr 15
		.amdhsa_next_free_sgpr 16
		.amdhsa_reserve_vcc 1
		.amdhsa_float_round_mode_32 0
		.amdhsa_float_round_mode_16_64 0
		.amdhsa_float_denorm_mode_32 3
		.amdhsa_float_denorm_mode_16_64 3
		.amdhsa_dx10_clamp 1
		.amdhsa_ieee_mode 1
		.amdhsa_fp16_overflow 0
		.amdhsa_workgroup_processor_mode 1
		.amdhsa_memory_ordered 1
		.amdhsa_forward_progress 0
		.amdhsa_shared_vgpr_count 0
		.amdhsa_exception_fp_ieee_invalid_op 0
		.amdhsa_exception_fp_denorm_src 0
		.amdhsa_exception_fp_ieee_div_zero 0
		.amdhsa_exception_fp_ieee_overflow 0
		.amdhsa_exception_fp_ieee_underflow 0
		.amdhsa_exception_fp_ieee_inexact 0
		.amdhsa_exception_int_div_zero 0
	.end_amdhsa_kernel
	.section	.text._ZN9rocsparseL23csr2csr_compress_kernelILi1024ELi256ELi4ELi64EdEEvii21rocsparse_index_base_PKT3_PKiS6_iS1_PS2_S6_PiNS_24const_host_device_scalarIS2_EEb,"axG",@progbits,_ZN9rocsparseL23csr2csr_compress_kernelILi1024ELi256ELi4ELi64EdEEvii21rocsparse_index_base_PKT3_PKiS6_iS1_PS2_S6_PiNS_24const_host_device_scalarIS2_EEb,comdat
.Lfunc_end19:
	.size	_ZN9rocsparseL23csr2csr_compress_kernelILi1024ELi256ELi4ELi64EdEEvii21rocsparse_index_base_PKT3_PKiS6_iS1_PS2_S6_PiNS_24const_host_device_scalarIS2_EEb, .Lfunc_end19-_ZN9rocsparseL23csr2csr_compress_kernelILi1024ELi256ELi4ELi64EdEEvii21rocsparse_index_base_PKT3_PKiS6_iS1_PS2_S6_PiNS_24const_host_device_scalarIS2_EEb
                                        ; -- End function
	.section	.AMDGPU.csdata,"",@progbits
; Kernel info:
; codeLenInByte = 680
; NumSgprs: 18
; NumVgprs: 15
; ScratchSize: 0
; MemoryBound: 0
; FloatMode: 240
; IeeeMode: 1
; LDSByteSize: 0 bytes/workgroup (compile time only)
; SGPRBlocks: 2
; VGPRBlocks: 1
; NumSGPRsForWavesPerEU: 18
; NumVGPRsForWavesPerEU: 15
; Occupancy: 16
; WaveLimiterHint : 0
; COMPUTE_PGM_RSRC2:SCRATCH_EN: 0
; COMPUTE_PGM_RSRC2:USER_SGPR: 15
; COMPUTE_PGM_RSRC2:TRAP_HANDLER: 0
; COMPUTE_PGM_RSRC2:TGID_X_EN: 1
; COMPUTE_PGM_RSRC2:TGID_Y_EN: 0
; COMPUTE_PGM_RSRC2:TGID_Z_EN: 0
; COMPUTE_PGM_RSRC2:TIDIG_COMP_CNT: 0
	.section	.text._ZN9rocsparseL23csr2csr_compress_kernelILi1024ELi128ELi8ELi64EdEEvii21rocsparse_index_base_PKT3_PKiS6_iS1_PS2_S6_PiNS_24const_host_device_scalarIS2_EEb,"axG",@progbits,_ZN9rocsparseL23csr2csr_compress_kernelILi1024ELi128ELi8ELi64EdEEvii21rocsparse_index_base_PKT3_PKiS6_iS1_PS2_S6_PiNS_24const_host_device_scalarIS2_EEb,comdat
	.globl	_ZN9rocsparseL23csr2csr_compress_kernelILi1024ELi128ELi8ELi64EdEEvii21rocsparse_index_base_PKT3_PKiS6_iS1_PS2_S6_PiNS_24const_host_device_scalarIS2_EEb ; -- Begin function _ZN9rocsparseL23csr2csr_compress_kernelILi1024ELi128ELi8ELi64EdEEvii21rocsparse_index_base_PKT3_PKiS6_iS1_PS2_S6_PiNS_24const_host_device_scalarIS2_EEb
	.p2align	8
	.type	_ZN9rocsparseL23csr2csr_compress_kernelILi1024ELi128ELi8ELi64EdEEvii21rocsparse_index_base_PKT3_PKiS6_iS1_PS2_S6_PiNS_24const_host_device_scalarIS2_EEb,@function
_ZN9rocsparseL23csr2csr_compress_kernelILi1024ELi128ELi8ELi64EdEEvii21rocsparse_index_base_PKT3_PKiS6_iS1_PS2_S6_PiNS_24const_host_device_scalarIS2_EEb: ; @_ZN9rocsparseL23csr2csr_compress_kernelILi1024ELi128ELi8ELi64EdEEvii21rocsparse_index_base_PKT3_PKiS6_iS1_PS2_S6_PiNS_24const_host_device_scalarIS2_EEb
; %bb.0:
	s_clause 0x1
	s_load_b32 s4, s[0:1], 0x50
	s_load_b64 s[2:3], s[0:1], 0x48
	s_waitcnt lgkmcnt(0)
	s_bitcmp1_b32 s4, 0
	v_dual_mov_b32 v1, s2 :: v_dual_mov_b32 v2, s3
	s_cselect_b32 s4, -1, 0
	s_delay_alu instid0(SALU_CYCLE_1)
	s_and_b32 vcc_lo, exec_lo, s4
	s_cbranch_vccnz .LBB20_2
; %bb.1:
	v_dual_mov_b32 v1, s2 :: v_dual_mov_b32 v2, s3
	flat_load_b64 v[1:2], v[1:2]
.LBB20_2:
	s_load_b32 s2, s[0:1], 0x0
	v_lshrrev_b32_e32 v3, 3, v0
	s_delay_alu instid0(VALU_DEP_1) | instskip(SKIP_1) | instid1(VALU_DEP_1)
	v_lshl_or_b32 v3, s15, 7, v3
	s_waitcnt lgkmcnt(0)
	v_cmp_gt_i32_e32 vcc_lo, s2, v3
	s_and_saveexec_b32 s2, vcc_lo
	s_cbranch_execz .LBB20_8
; %bb.3:
	s_clause 0x1
	s_load_b64 s[2:3], s[0:1], 0x18
	s_load_b32 s6, s[0:1], 0x8
	v_ashrrev_i32_e32 v4, 31, v3
	s_delay_alu instid0(VALU_DEP_1) | instskip(SKIP_1) | instid1(VALU_DEP_1)
	v_lshlrev_b64 v[4:5], 2, v[3:4]
	s_waitcnt lgkmcnt(0)
	v_add_co_u32 v6, vcc_lo, s2, v4
	s_delay_alu instid0(VALU_DEP_2) | instskip(SKIP_2) | instid1(VALU_DEP_1)
	v_add_co_ci_u32_e32 v7, vcc_lo, s3, v5, vcc_lo
	global_load_b64 v[7:8], v[6:7], off
	v_and_b32_e32 v6, 7, v0
	v_subrev_nc_u32_e32 v3, s6, v6
	s_waitcnt vmcnt(0)
	v_subrev_nc_u32_e32 v8, s6, v8
	s_delay_alu instid0(VALU_DEP_2) | instskip(NEXT) | instid1(VALU_DEP_1)
	v_add_nc_u32_e32 v3, v7, v3
	v_cmp_lt_i32_e32 vcc_lo, v3, v8
	s_and_b32 exec_lo, exec_lo, vcc_lo
	s_cbranch_execz .LBB20_8
; %bb.4:
	s_clause 0x1
	s_load_b128 s[8:11], s[0:1], 0x30
	s_load_b64 s[12:13], s[0:1], 0x40
	v_and_b32_e32 v9, 56, v0
	s_waitcnt lgkmcnt(0)
	v_add_co_u32 v4, vcc_lo, s10, v4
	v_add_co_ci_u32_e32 v5, vcc_lo, s11, v5, vcc_lo
	global_load_b32 v7, v[4:5], off
	s_clause 0x2
	s_load_b32 s7, s[0:1], 0x2c
	s_load_b64 s[2:3], s[0:1], 0x10
	s_load_b64 s[4:5], s[0:1], 0x20
	v_xor_b32_e32 v4, 63, v6
	v_mbcnt_lo_u32_b32 v6, -1, 0
	s_mov_b32 s1, 0
	s_delay_alu instid0(VALU_DEP_2) | instskip(NEXT) | instid1(VALU_DEP_2)
	v_lshrrev_b64 v[4:5], v4, -1
	v_lshl_or_b32 v0, v6, 2, 28
	s_delay_alu instid0(VALU_DEP_2)
	v_lshlrev_b64 v[5:6], v9, v[4:5]
	s_waitcnt lgkmcnt(0)
	s_sub_i32 s6, s7, s6
	s_waitcnt vmcnt(0)
	v_subrev_nc_u32_e32 v9, s7, v7
	s_add_u32 s7, s8, -8
	s_addc_u32 s8, s9, -1
	s_add_u32 s9, s12, -4
	s_addc_u32 s10, s13, -1
	s_branch .LBB20_6
.LBB20_5:                               ;   in Loop: Header=BB20_6 Depth=1
	s_or_b32 exec_lo, exec_lo, s0
	ds_bpermute_b32 v4, v0, v10
	v_add_nc_u32_e32 v3, 8, v3
	s_delay_alu instid0(VALU_DEP_1)
	v_cmp_ge_i32_e32 vcc_lo, v3, v8
	s_or_b32 s1, vcc_lo, s1
	s_waitcnt lgkmcnt(0)
	v_add_nc_u32_e32 v9, v4, v9
	s_and_not1_b32 exec_lo, exec_lo, s1
	s_cbranch_execz .LBB20_8
.LBB20_6:                               ; =>This Inner Loop Header: Depth=1
	v_ashrrev_i32_e32 v4, 31, v3
	s_delay_alu instid0(VALU_DEP_1) | instskip(NEXT) | instid1(VALU_DEP_1)
	v_lshlrev_b64 v[6:7], 3, v[3:4]
	v_add_co_u32 v6, vcc_lo, s2, v6
	s_delay_alu instid0(VALU_DEP_2) | instskip(SKIP_4) | instid1(VALU_DEP_1)
	v_add_co_ci_u32_e32 v7, vcc_lo, s3, v7, vcc_lo
	global_load_b64 v[6:7], v[6:7], off
	s_waitcnt vmcnt(0)
	v_cmp_gt_f64_e32 vcc_lo, 0, v[6:7]
	v_xor_b32_e32 v10, 0x80000000, v7
	v_cndmask_b32_e32 v11, v7, v10, vcc_lo
	v_cndmask_b32_e32 v10, v6, v6, vcc_lo
	s_delay_alu instid0(VALU_DEP_1) | instskip(SKIP_1) | instid1(VALU_DEP_1)
	v_cmp_gt_f64_e32 vcc_lo, v[10:11], v[1:2]
	v_cmp_lt_f64_e64 s0, 0x38100000, v[10:11]
	s_and_b32 s11, vcc_lo, s0
	s_delay_alu instid0(SALU_CYCLE_1) | instskip(NEXT) | instid1(VALU_DEP_1)
	v_cndmask_b32_e64 v10, 0, 1, s11
	v_cmp_ne_u32_e32 vcc_lo, 0, v10
	v_and_b32_e32 v10, vcc_lo, v5
	s_delay_alu instid0(VALU_DEP_1)
	v_bcnt_u32_b32 v10, v10, 0
	s_and_saveexec_b32 s0, s11
	s_cbranch_execz .LBB20_5
; %bb.7:                                ;   in Loop: Header=BB20_6 Depth=1
	v_lshlrev_b64 v[11:12], 2, v[3:4]
	s_delay_alu instid0(VALU_DEP_1) | instskip(NEXT) | instid1(VALU_DEP_2)
	v_add_co_u32 v11, vcc_lo, s4, v11
	v_add_co_ci_u32_e32 v12, vcc_lo, s5, v12, vcc_lo
	global_load_b32 v4, v[11:12], off
	v_ashrrev_i32_e32 v12, 31, v9
	v_add_co_u32 v11, vcc_lo, v9, v10
	s_delay_alu instid0(VALU_DEP_2) | instskip(NEXT) | instid1(VALU_DEP_1)
	v_add_co_ci_u32_e32 v12, vcc_lo, 0, v12, vcc_lo
	v_lshlrev_b64 v[13:14], 3, v[11:12]
	v_lshlrev_b64 v[11:12], 2, v[11:12]
	s_delay_alu instid0(VALU_DEP_2) | instskip(NEXT) | instid1(VALU_DEP_3)
	v_add_co_u32 v13, vcc_lo, s7, v13
	v_add_co_ci_u32_e32 v14, vcc_lo, s8, v14, vcc_lo
	s_delay_alu instid0(VALU_DEP_3) | instskip(NEXT) | instid1(VALU_DEP_4)
	v_add_co_u32 v11, vcc_lo, s9, v11
	v_add_co_ci_u32_e32 v12, vcc_lo, s10, v12, vcc_lo
	s_waitcnt vmcnt(0)
	v_add_nc_u32_e32 v4, s6, v4
	global_store_b64 v[13:14], v[6:7], off
	global_store_b32 v[11:12], v4, off
	s_branch .LBB20_5
.LBB20_8:
	s_nop 0
	s_sendmsg sendmsg(MSG_DEALLOC_VGPRS)
	s_endpgm
	.section	.rodata,"a",@progbits
	.p2align	6, 0x0
	.amdhsa_kernel _ZN9rocsparseL23csr2csr_compress_kernelILi1024ELi128ELi8ELi64EdEEvii21rocsparse_index_base_PKT3_PKiS6_iS1_PS2_S6_PiNS_24const_host_device_scalarIS2_EEb
		.amdhsa_group_segment_fixed_size 0
		.amdhsa_private_segment_fixed_size 0
		.amdhsa_kernarg_size 84
		.amdhsa_user_sgpr_count 15
		.amdhsa_user_sgpr_dispatch_ptr 0
		.amdhsa_user_sgpr_queue_ptr 0
		.amdhsa_user_sgpr_kernarg_segment_ptr 1
		.amdhsa_user_sgpr_dispatch_id 0
		.amdhsa_user_sgpr_private_segment_size 0
		.amdhsa_wavefront_size32 1
		.amdhsa_uses_dynamic_stack 0
		.amdhsa_enable_private_segment 0
		.amdhsa_system_sgpr_workgroup_id_x 1
		.amdhsa_system_sgpr_workgroup_id_y 0
		.amdhsa_system_sgpr_workgroup_id_z 0
		.amdhsa_system_sgpr_workgroup_info 0
		.amdhsa_system_vgpr_workitem_id 0
		.amdhsa_next_free_vgpr 15
		.amdhsa_next_free_sgpr 16
		.amdhsa_reserve_vcc 1
		.amdhsa_float_round_mode_32 0
		.amdhsa_float_round_mode_16_64 0
		.amdhsa_float_denorm_mode_32 3
		.amdhsa_float_denorm_mode_16_64 3
		.amdhsa_dx10_clamp 1
		.amdhsa_ieee_mode 1
		.amdhsa_fp16_overflow 0
		.amdhsa_workgroup_processor_mode 1
		.amdhsa_memory_ordered 1
		.amdhsa_forward_progress 0
		.amdhsa_shared_vgpr_count 0
		.amdhsa_exception_fp_ieee_invalid_op 0
		.amdhsa_exception_fp_denorm_src 0
		.amdhsa_exception_fp_ieee_div_zero 0
		.amdhsa_exception_fp_ieee_overflow 0
		.amdhsa_exception_fp_ieee_underflow 0
		.amdhsa_exception_fp_ieee_inexact 0
		.amdhsa_exception_int_div_zero 0
	.end_amdhsa_kernel
	.section	.text._ZN9rocsparseL23csr2csr_compress_kernelILi1024ELi128ELi8ELi64EdEEvii21rocsparse_index_base_PKT3_PKiS6_iS1_PS2_S6_PiNS_24const_host_device_scalarIS2_EEb,"axG",@progbits,_ZN9rocsparseL23csr2csr_compress_kernelILi1024ELi128ELi8ELi64EdEEvii21rocsparse_index_base_PKT3_PKiS6_iS1_PS2_S6_PiNS_24const_host_device_scalarIS2_EEb,comdat
.Lfunc_end20:
	.size	_ZN9rocsparseL23csr2csr_compress_kernelILi1024ELi128ELi8ELi64EdEEvii21rocsparse_index_base_PKT3_PKiS6_iS1_PS2_S6_PiNS_24const_host_device_scalarIS2_EEb, .Lfunc_end20-_ZN9rocsparseL23csr2csr_compress_kernelILi1024ELi128ELi8ELi64EdEEvii21rocsparse_index_base_PKT3_PKiS6_iS1_PS2_S6_PiNS_24const_host_device_scalarIS2_EEb
                                        ; -- End function
	.section	.AMDGPU.csdata,"",@progbits
; Kernel info:
; codeLenInByte = 680
; NumSgprs: 18
; NumVgprs: 15
; ScratchSize: 0
; MemoryBound: 0
; FloatMode: 240
; IeeeMode: 1
; LDSByteSize: 0 bytes/workgroup (compile time only)
; SGPRBlocks: 2
; VGPRBlocks: 1
; NumSGPRsForWavesPerEU: 18
; NumVGPRsForWavesPerEU: 15
; Occupancy: 16
; WaveLimiterHint : 0
; COMPUTE_PGM_RSRC2:SCRATCH_EN: 0
; COMPUTE_PGM_RSRC2:USER_SGPR: 15
; COMPUTE_PGM_RSRC2:TRAP_HANDLER: 0
; COMPUTE_PGM_RSRC2:TGID_X_EN: 1
; COMPUTE_PGM_RSRC2:TGID_Y_EN: 0
; COMPUTE_PGM_RSRC2:TGID_Z_EN: 0
; COMPUTE_PGM_RSRC2:TIDIG_COMP_CNT: 0
	.section	.text._ZN9rocsparseL23csr2csr_compress_kernelILi1024ELi64ELi16ELi64EdEEvii21rocsparse_index_base_PKT3_PKiS6_iS1_PS2_S6_PiNS_24const_host_device_scalarIS2_EEb,"axG",@progbits,_ZN9rocsparseL23csr2csr_compress_kernelILi1024ELi64ELi16ELi64EdEEvii21rocsparse_index_base_PKT3_PKiS6_iS1_PS2_S6_PiNS_24const_host_device_scalarIS2_EEb,comdat
	.globl	_ZN9rocsparseL23csr2csr_compress_kernelILi1024ELi64ELi16ELi64EdEEvii21rocsparse_index_base_PKT3_PKiS6_iS1_PS2_S6_PiNS_24const_host_device_scalarIS2_EEb ; -- Begin function _ZN9rocsparseL23csr2csr_compress_kernelILi1024ELi64ELi16ELi64EdEEvii21rocsparse_index_base_PKT3_PKiS6_iS1_PS2_S6_PiNS_24const_host_device_scalarIS2_EEb
	.p2align	8
	.type	_ZN9rocsparseL23csr2csr_compress_kernelILi1024ELi64ELi16ELi64EdEEvii21rocsparse_index_base_PKT3_PKiS6_iS1_PS2_S6_PiNS_24const_host_device_scalarIS2_EEb,@function
_ZN9rocsparseL23csr2csr_compress_kernelILi1024ELi64ELi16ELi64EdEEvii21rocsparse_index_base_PKT3_PKiS6_iS1_PS2_S6_PiNS_24const_host_device_scalarIS2_EEb: ; @_ZN9rocsparseL23csr2csr_compress_kernelILi1024ELi64ELi16ELi64EdEEvii21rocsparse_index_base_PKT3_PKiS6_iS1_PS2_S6_PiNS_24const_host_device_scalarIS2_EEb
; %bb.0:
	s_clause 0x1
	s_load_b32 s4, s[0:1], 0x50
	s_load_b64 s[2:3], s[0:1], 0x48
	s_waitcnt lgkmcnt(0)
	s_bitcmp1_b32 s4, 0
	v_dual_mov_b32 v1, s2 :: v_dual_mov_b32 v2, s3
	s_cselect_b32 s4, -1, 0
	s_delay_alu instid0(SALU_CYCLE_1)
	s_and_b32 vcc_lo, exec_lo, s4
	s_cbranch_vccnz .LBB21_2
; %bb.1:
	v_dual_mov_b32 v1, s2 :: v_dual_mov_b32 v2, s3
	flat_load_b64 v[1:2], v[1:2]
.LBB21_2:
	s_load_b32 s2, s[0:1], 0x0
	v_lshrrev_b32_e32 v3, 4, v0
	s_delay_alu instid0(VALU_DEP_1) | instskip(SKIP_1) | instid1(VALU_DEP_1)
	v_lshl_or_b32 v3, s15, 6, v3
	s_waitcnt lgkmcnt(0)
	v_cmp_gt_i32_e32 vcc_lo, s2, v3
	s_and_saveexec_b32 s2, vcc_lo
	s_cbranch_execz .LBB21_8
; %bb.3:
	s_clause 0x1
	s_load_b64 s[2:3], s[0:1], 0x18
	s_load_b32 s6, s[0:1], 0x8
	v_ashrrev_i32_e32 v4, 31, v3
	s_delay_alu instid0(VALU_DEP_1) | instskip(SKIP_1) | instid1(VALU_DEP_1)
	v_lshlrev_b64 v[4:5], 2, v[3:4]
	s_waitcnt lgkmcnt(0)
	v_add_co_u32 v6, vcc_lo, s2, v4
	s_delay_alu instid0(VALU_DEP_2) | instskip(SKIP_2) | instid1(VALU_DEP_1)
	v_add_co_ci_u32_e32 v7, vcc_lo, s3, v5, vcc_lo
	global_load_b64 v[7:8], v[6:7], off
	v_and_b32_e32 v6, 15, v0
	v_subrev_nc_u32_e32 v3, s6, v6
	s_waitcnt vmcnt(0)
	v_subrev_nc_u32_e32 v8, s6, v8
	s_delay_alu instid0(VALU_DEP_2) | instskip(NEXT) | instid1(VALU_DEP_1)
	v_add_nc_u32_e32 v3, v7, v3
	v_cmp_lt_i32_e32 vcc_lo, v3, v8
	s_and_b32 exec_lo, exec_lo, vcc_lo
	s_cbranch_execz .LBB21_8
; %bb.4:
	s_clause 0x1
	s_load_b128 s[8:11], s[0:1], 0x30
	s_load_b64 s[12:13], s[0:1], 0x40
	v_and_b32_e32 v9, 48, v0
	s_waitcnt lgkmcnt(0)
	v_add_co_u32 v4, vcc_lo, s10, v4
	v_add_co_ci_u32_e32 v5, vcc_lo, s11, v5, vcc_lo
	global_load_b32 v7, v[4:5], off
	s_clause 0x2
	s_load_b32 s7, s[0:1], 0x2c
	s_load_b64 s[2:3], s[0:1], 0x10
	s_load_b64 s[4:5], s[0:1], 0x20
	v_xor_b32_e32 v4, 63, v6
	v_mbcnt_lo_u32_b32 v6, -1, 0
	s_mov_b32 s1, 0
	s_delay_alu instid0(VALU_DEP_2) | instskip(NEXT) | instid1(VALU_DEP_2)
	v_lshrrev_b64 v[4:5], v4, -1
	v_lshl_or_b32 v0, v6, 2, 60
	s_delay_alu instid0(VALU_DEP_2)
	v_lshlrev_b64 v[5:6], v9, v[4:5]
	s_waitcnt lgkmcnt(0)
	s_sub_i32 s6, s7, s6
	s_waitcnt vmcnt(0)
	v_subrev_nc_u32_e32 v9, s7, v7
	s_add_u32 s7, s8, -8
	s_addc_u32 s8, s9, -1
	s_add_u32 s9, s12, -4
	s_addc_u32 s10, s13, -1
	s_branch .LBB21_6
.LBB21_5:                               ;   in Loop: Header=BB21_6 Depth=1
	s_or_b32 exec_lo, exec_lo, s0
	ds_bpermute_b32 v4, v0, v10
	v_add_nc_u32_e32 v3, 16, v3
	s_delay_alu instid0(VALU_DEP_1)
	v_cmp_ge_i32_e32 vcc_lo, v3, v8
	s_or_b32 s1, vcc_lo, s1
	s_waitcnt lgkmcnt(0)
	v_add_nc_u32_e32 v9, v4, v9
	s_and_not1_b32 exec_lo, exec_lo, s1
	s_cbranch_execz .LBB21_8
.LBB21_6:                               ; =>This Inner Loop Header: Depth=1
	v_ashrrev_i32_e32 v4, 31, v3
	s_delay_alu instid0(VALU_DEP_1) | instskip(NEXT) | instid1(VALU_DEP_1)
	v_lshlrev_b64 v[6:7], 3, v[3:4]
	v_add_co_u32 v6, vcc_lo, s2, v6
	s_delay_alu instid0(VALU_DEP_2) | instskip(SKIP_4) | instid1(VALU_DEP_1)
	v_add_co_ci_u32_e32 v7, vcc_lo, s3, v7, vcc_lo
	global_load_b64 v[6:7], v[6:7], off
	s_waitcnt vmcnt(0)
	v_cmp_gt_f64_e32 vcc_lo, 0, v[6:7]
	v_xor_b32_e32 v10, 0x80000000, v7
	v_cndmask_b32_e32 v11, v7, v10, vcc_lo
	v_cndmask_b32_e32 v10, v6, v6, vcc_lo
	s_delay_alu instid0(VALU_DEP_1) | instskip(SKIP_1) | instid1(VALU_DEP_1)
	v_cmp_gt_f64_e32 vcc_lo, v[10:11], v[1:2]
	v_cmp_lt_f64_e64 s0, 0x38100000, v[10:11]
	s_and_b32 s11, vcc_lo, s0
	s_delay_alu instid0(SALU_CYCLE_1) | instskip(NEXT) | instid1(VALU_DEP_1)
	v_cndmask_b32_e64 v10, 0, 1, s11
	v_cmp_ne_u32_e32 vcc_lo, 0, v10
	v_and_b32_e32 v10, vcc_lo, v5
	s_delay_alu instid0(VALU_DEP_1)
	v_bcnt_u32_b32 v10, v10, 0
	s_and_saveexec_b32 s0, s11
	s_cbranch_execz .LBB21_5
; %bb.7:                                ;   in Loop: Header=BB21_6 Depth=1
	v_lshlrev_b64 v[11:12], 2, v[3:4]
	s_delay_alu instid0(VALU_DEP_1) | instskip(NEXT) | instid1(VALU_DEP_2)
	v_add_co_u32 v11, vcc_lo, s4, v11
	v_add_co_ci_u32_e32 v12, vcc_lo, s5, v12, vcc_lo
	global_load_b32 v4, v[11:12], off
	v_ashrrev_i32_e32 v12, 31, v9
	v_add_co_u32 v11, vcc_lo, v9, v10
	s_delay_alu instid0(VALU_DEP_2) | instskip(NEXT) | instid1(VALU_DEP_1)
	v_add_co_ci_u32_e32 v12, vcc_lo, 0, v12, vcc_lo
	v_lshlrev_b64 v[13:14], 3, v[11:12]
	v_lshlrev_b64 v[11:12], 2, v[11:12]
	s_delay_alu instid0(VALU_DEP_2) | instskip(NEXT) | instid1(VALU_DEP_3)
	v_add_co_u32 v13, vcc_lo, s7, v13
	v_add_co_ci_u32_e32 v14, vcc_lo, s8, v14, vcc_lo
	s_delay_alu instid0(VALU_DEP_3) | instskip(NEXT) | instid1(VALU_DEP_4)
	v_add_co_u32 v11, vcc_lo, s9, v11
	v_add_co_ci_u32_e32 v12, vcc_lo, s10, v12, vcc_lo
	s_waitcnt vmcnt(0)
	v_add_nc_u32_e32 v4, s6, v4
	global_store_b64 v[13:14], v[6:7], off
	global_store_b32 v[11:12], v4, off
	s_branch .LBB21_5
.LBB21_8:
	s_nop 0
	s_sendmsg sendmsg(MSG_DEALLOC_VGPRS)
	s_endpgm
	.section	.rodata,"a",@progbits
	.p2align	6, 0x0
	.amdhsa_kernel _ZN9rocsparseL23csr2csr_compress_kernelILi1024ELi64ELi16ELi64EdEEvii21rocsparse_index_base_PKT3_PKiS6_iS1_PS2_S6_PiNS_24const_host_device_scalarIS2_EEb
		.amdhsa_group_segment_fixed_size 0
		.amdhsa_private_segment_fixed_size 0
		.amdhsa_kernarg_size 84
		.amdhsa_user_sgpr_count 15
		.amdhsa_user_sgpr_dispatch_ptr 0
		.amdhsa_user_sgpr_queue_ptr 0
		.amdhsa_user_sgpr_kernarg_segment_ptr 1
		.amdhsa_user_sgpr_dispatch_id 0
		.amdhsa_user_sgpr_private_segment_size 0
		.amdhsa_wavefront_size32 1
		.amdhsa_uses_dynamic_stack 0
		.amdhsa_enable_private_segment 0
		.amdhsa_system_sgpr_workgroup_id_x 1
		.amdhsa_system_sgpr_workgroup_id_y 0
		.amdhsa_system_sgpr_workgroup_id_z 0
		.amdhsa_system_sgpr_workgroup_info 0
		.amdhsa_system_vgpr_workitem_id 0
		.amdhsa_next_free_vgpr 15
		.amdhsa_next_free_sgpr 16
		.amdhsa_reserve_vcc 1
		.amdhsa_float_round_mode_32 0
		.amdhsa_float_round_mode_16_64 0
		.amdhsa_float_denorm_mode_32 3
		.amdhsa_float_denorm_mode_16_64 3
		.amdhsa_dx10_clamp 1
		.amdhsa_ieee_mode 1
		.amdhsa_fp16_overflow 0
		.amdhsa_workgroup_processor_mode 1
		.amdhsa_memory_ordered 1
		.amdhsa_forward_progress 0
		.amdhsa_shared_vgpr_count 0
		.amdhsa_exception_fp_ieee_invalid_op 0
		.amdhsa_exception_fp_denorm_src 0
		.amdhsa_exception_fp_ieee_div_zero 0
		.amdhsa_exception_fp_ieee_overflow 0
		.amdhsa_exception_fp_ieee_underflow 0
		.amdhsa_exception_fp_ieee_inexact 0
		.amdhsa_exception_int_div_zero 0
	.end_amdhsa_kernel
	.section	.text._ZN9rocsparseL23csr2csr_compress_kernelILi1024ELi64ELi16ELi64EdEEvii21rocsparse_index_base_PKT3_PKiS6_iS1_PS2_S6_PiNS_24const_host_device_scalarIS2_EEb,"axG",@progbits,_ZN9rocsparseL23csr2csr_compress_kernelILi1024ELi64ELi16ELi64EdEEvii21rocsparse_index_base_PKT3_PKiS6_iS1_PS2_S6_PiNS_24const_host_device_scalarIS2_EEb,comdat
.Lfunc_end21:
	.size	_ZN9rocsparseL23csr2csr_compress_kernelILi1024ELi64ELi16ELi64EdEEvii21rocsparse_index_base_PKT3_PKiS6_iS1_PS2_S6_PiNS_24const_host_device_scalarIS2_EEb, .Lfunc_end21-_ZN9rocsparseL23csr2csr_compress_kernelILi1024ELi64ELi16ELi64EdEEvii21rocsparse_index_base_PKT3_PKiS6_iS1_PS2_S6_PiNS_24const_host_device_scalarIS2_EEb
                                        ; -- End function
	.section	.AMDGPU.csdata,"",@progbits
; Kernel info:
; codeLenInByte = 680
; NumSgprs: 18
; NumVgprs: 15
; ScratchSize: 0
; MemoryBound: 0
; FloatMode: 240
; IeeeMode: 1
; LDSByteSize: 0 bytes/workgroup (compile time only)
; SGPRBlocks: 2
; VGPRBlocks: 1
; NumSGPRsForWavesPerEU: 18
; NumVGPRsForWavesPerEU: 15
; Occupancy: 16
; WaveLimiterHint : 0
; COMPUTE_PGM_RSRC2:SCRATCH_EN: 0
; COMPUTE_PGM_RSRC2:USER_SGPR: 15
; COMPUTE_PGM_RSRC2:TRAP_HANDLER: 0
; COMPUTE_PGM_RSRC2:TGID_X_EN: 1
; COMPUTE_PGM_RSRC2:TGID_Y_EN: 0
; COMPUTE_PGM_RSRC2:TGID_Z_EN: 0
; COMPUTE_PGM_RSRC2:TIDIG_COMP_CNT: 0
	.section	.text._ZN9rocsparseL23csr2csr_compress_kernelILi1024ELi32ELi32ELi64EdEEvii21rocsparse_index_base_PKT3_PKiS6_iS1_PS2_S6_PiNS_24const_host_device_scalarIS2_EEb,"axG",@progbits,_ZN9rocsparseL23csr2csr_compress_kernelILi1024ELi32ELi32ELi64EdEEvii21rocsparse_index_base_PKT3_PKiS6_iS1_PS2_S6_PiNS_24const_host_device_scalarIS2_EEb,comdat
	.globl	_ZN9rocsparseL23csr2csr_compress_kernelILi1024ELi32ELi32ELi64EdEEvii21rocsparse_index_base_PKT3_PKiS6_iS1_PS2_S6_PiNS_24const_host_device_scalarIS2_EEb ; -- Begin function _ZN9rocsparseL23csr2csr_compress_kernelILi1024ELi32ELi32ELi64EdEEvii21rocsparse_index_base_PKT3_PKiS6_iS1_PS2_S6_PiNS_24const_host_device_scalarIS2_EEb
	.p2align	8
	.type	_ZN9rocsparseL23csr2csr_compress_kernelILi1024ELi32ELi32ELi64EdEEvii21rocsparse_index_base_PKT3_PKiS6_iS1_PS2_S6_PiNS_24const_host_device_scalarIS2_EEb,@function
_ZN9rocsparseL23csr2csr_compress_kernelILi1024ELi32ELi32ELi64EdEEvii21rocsparse_index_base_PKT3_PKiS6_iS1_PS2_S6_PiNS_24const_host_device_scalarIS2_EEb: ; @_ZN9rocsparseL23csr2csr_compress_kernelILi1024ELi32ELi32ELi64EdEEvii21rocsparse_index_base_PKT3_PKiS6_iS1_PS2_S6_PiNS_24const_host_device_scalarIS2_EEb
; %bb.0:
	s_clause 0x1
	s_load_b32 s4, s[0:1], 0x50
	s_load_b64 s[2:3], s[0:1], 0x48
	s_waitcnt lgkmcnt(0)
	s_bitcmp1_b32 s4, 0
	v_dual_mov_b32 v1, s2 :: v_dual_mov_b32 v2, s3
	s_cselect_b32 s4, -1, 0
	s_delay_alu instid0(SALU_CYCLE_1)
	s_and_b32 vcc_lo, exec_lo, s4
	s_cbranch_vccnz .LBB22_2
; %bb.1:
	v_dual_mov_b32 v1, s2 :: v_dual_mov_b32 v2, s3
	flat_load_b64 v[1:2], v[1:2]
.LBB22_2:
	s_load_b32 s2, s[0:1], 0x0
	v_lshrrev_b32_e32 v3, 5, v0
	s_delay_alu instid0(VALU_DEP_1) | instskip(SKIP_1) | instid1(VALU_DEP_1)
	v_lshl_or_b32 v3, s15, 5, v3
	s_waitcnt lgkmcnt(0)
	v_cmp_gt_i32_e32 vcc_lo, s2, v3
	s_and_saveexec_b32 s2, vcc_lo
	s_cbranch_execz .LBB22_8
; %bb.3:
	s_clause 0x1
	s_load_b64 s[2:3], s[0:1], 0x18
	s_load_b32 s6, s[0:1], 0x8
	v_ashrrev_i32_e32 v4, 31, v3
	s_delay_alu instid0(VALU_DEP_1) | instskip(SKIP_1) | instid1(VALU_DEP_1)
	v_lshlrev_b64 v[4:5], 2, v[3:4]
	s_waitcnt lgkmcnt(0)
	v_add_co_u32 v6, vcc_lo, s2, v4
	s_delay_alu instid0(VALU_DEP_2) | instskip(SKIP_2) | instid1(VALU_DEP_1)
	v_add_co_ci_u32_e32 v7, vcc_lo, s3, v5, vcc_lo
	global_load_b64 v[7:8], v[6:7], off
	v_and_b32_e32 v6, 31, v0
	v_subrev_nc_u32_e32 v3, s6, v6
	s_waitcnt vmcnt(0)
	v_subrev_nc_u32_e32 v8, s6, v8
	s_delay_alu instid0(VALU_DEP_2) | instskip(NEXT) | instid1(VALU_DEP_1)
	v_add_nc_u32_e32 v3, v7, v3
	v_cmp_lt_i32_e32 vcc_lo, v3, v8
	s_and_b32 exec_lo, exec_lo, vcc_lo
	s_cbranch_execz .LBB22_8
; %bb.4:
	s_clause 0x1
	s_load_b128 s[8:11], s[0:1], 0x30
	s_load_b64 s[12:13], s[0:1], 0x40
	s_waitcnt lgkmcnt(0)
	v_add_co_u32 v4, vcc_lo, s10, v4
	v_add_co_ci_u32_e32 v5, vcc_lo, s11, v5, vcc_lo
	s_mov_b32 s10, 0
	global_load_b32 v7, v[4:5], off
	s_clause 0x2
	s_load_b32 s7, s[0:1], 0x2c
	s_load_b64 s[2:3], s[0:1], 0x10
	s_load_b64 s[4:5], s[0:1], 0x20
	v_xor_b32_e32 v4, 63, v6
	v_and_b32_e32 v6, 32, v0
	v_mov_b32_e32 v0, 0x7c
	s_delay_alu instid0(VALU_DEP_3) | instskip(NEXT) | instid1(VALU_DEP_1)
	v_lshrrev_b64 v[4:5], v4, -1
	v_lshlrev_b64 v[5:6], v6, v[4:5]
	s_waitcnt lgkmcnt(0)
	s_sub_i32 s1, s7, s6
	s_add_u32 s6, s8, -8
	s_waitcnt vmcnt(0)
	v_subrev_nc_u32_e32 v9, s7, v7
	s_addc_u32 s7, s9, -1
	s_add_u32 s8, s12, -4
	s_addc_u32 s9, s13, -1
	s_branch .LBB22_6
.LBB22_5:                               ;   in Loop: Header=BB22_6 Depth=1
	s_or_b32 exec_lo, exec_lo, s0
	ds_bpermute_b32 v4, v0, v10
	v_add_nc_u32_e32 v3, 32, v3
	s_delay_alu instid0(VALU_DEP_1)
	v_cmp_ge_i32_e32 vcc_lo, v3, v8
	s_or_b32 s10, vcc_lo, s10
	s_waitcnt lgkmcnt(0)
	v_add_nc_u32_e32 v9, v4, v9
	s_and_not1_b32 exec_lo, exec_lo, s10
	s_cbranch_execz .LBB22_8
.LBB22_6:                               ; =>This Inner Loop Header: Depth=1
	v_ashrrev_i32_e32 v4, 31, v3
	s_delay_alu instid0(VALU_DEP_1) | instskip(NEXT) | instid1(VALU_DEP_1)
	v_lshlrev_b64 v[6:7], 3, v[3:4]
	v_add_co_u32 v6, vcc_lo, s2, v6
	s_delay_alu instid0(VALU_DEP_2) | instskip(SKIP_4) | instid1(VALU_DEP_1)
	v_add_co_ci_u32_e32 v7, vcc_lo, s3, v7, vcc_lo
	global_load_b64 v[6:7], v[6:7], off
	s_waitcnt vmcnt(0)
	v_cmp_gt_f64_e32 vcc_lo, 0, v[6:7]
	v_xor_b32_e32 v10, 0x80000000, v7
	v_cndmask_b32_e32 v11, v7, v10, vcc_lo
	v_cndmask_b32_e32 v10, v6, v6, vcc_lo
	s_delay_alu instid0(VALU_DEP_1) | instskip(SKIP_1) | instid1(VALU_DEP_1)
	v_cmp_gt_f64_e32 vcc_lo, v[10:11], v[1:2]
	v_cmp_lt_f64_e64 s0, 0x38100000, v[10:11]
	s_and_b32 s11, vcc_lo, s0
	s_delay_alu instid0(SALU_CYCLE_1) | instskip(NEXT) | instid1(VALU_DEP_1)
	v_cndmask_b32_e64 v10, 0, 1, s11
	v_cmp_ne_u32_e32 vcc_lo, 0, v10
	v_and_b32_e32 v10, vcc_lo, v5
	s_delay_alu instid0(VALU_DEP_1)
	v_bcnt_u32_b32 v10, v10, 0
	s_and_saveexec_b32 s0, s11
	s_cbranch_execz .LBB22_5
; %bb.7:                                ;   in Loop: Header=BB22_6 Depth=1
	v_lshlrev_b64 v[11:12], 2, v[3:4]
	s_delay_alu instid0(VALU_DEP_1) | instskip(NEXT) | instid1(VALU_DEP_2)
	v_add_co_u32 v11, vcc_lo, s4, v11
	v_add_co_ci_u32_e32 v12, vcc_lo, s5, v12, vcc_lo
	global_load_b32 v4, v[11:12], off
	v_ashrrev_i32_e32 v12, 31, v9
	v_add_co_u32 v11, vcc_lo, v9, v10
	s_delay_alu instid0(VALU_DEP_2) | instskip(NEXT) | instid1(VALU_DEP_1)
	v_add_co_ci_u32_e32 v12, vcc_lo, 0, v12, vcc_lo
	v_lshlrev_b64 v[13:14], 3, v[11:12]
	v_lshlrev_b64 v[11:12], 2, v[11:12]
	s_delay_alu instid0(VALU_DEP_2) | instskip(NEXT) | instid1(VALU_DEP_3)
	v_add_co_u32 v13, vcc_lo, s6, v13
	v_add_co_ci_u32_e32 v14, vcc_lo, s7, v14, vcc_lo
	s_delay_alu instid0(VALU_DEP_3) | instskip(NEXT) | instid1(VALU_DEP_4)
	v_add_co_u32 v11, vcc_lo, s8, v11
	v_add_co_ci_u32_e32 v12, vcc_lo, s9, v12, vcc_lo
	s_waitcnt vmcnt(0)
	v_add_nc_u32_e32 v4, s1, v4
	global_store_b64 v[13:14], v[6:7], off
	global_store_b32 v[11:12], v4, off
	s_branch .LBB22_5
.LBB22_8:
	s_nop 0
	s_sendmsg sendmsg(MSG_DEALLOC_VGPRS)
	s_endpgm
	.section	.rodata,"a",@progbits
	.p2align	6, 0x0
	.amdhsa_kernel _ZN9rocsparseL23csr2csr_compress_kernelILi1024ELi32ELi32ELi64EdEEvii21rocsparse_index_base_PKT3_PKiS6_iS1_PS2_S6_PiNS_24const_host_device_scalarIS2_EEb
		.amdhsa_group_segment_fixed_size 0
		.amdhsa_private_segment_fixed_size 0
		.amdhsa_kernarg_size 84
		.amdhsa_user_sgpr_count 15
		.amdhsa_user_sgpr_dispatch_ptr 0
		.amdhsa_user_sgpr_queue_ptr 0
		.amdhsa_user_sgpr_kernarg_segment_ptr 1
		.amdhsa_user_sgpr_dispatch_id 0
		.amdhsa_user_sgpr_private_segment_size 0
		.amdhsa_wavefront_size32 1
		.amdhsa_uses_dynamic_stack 0
		.amdhsa_enable_private_segment 0
		.amdhsa_system_sgpr_workgroup_id_x 1
		.amdhsa_system_sgpr_workgroup_id_y 0
		.amdhsa_system_sgpr_workgroup_id_z 0
		.amdhsa_system_sgpr_workgroup_info 0
		.amdhsa_system_vgpr_workitem_id 0
		.amdhsa_next_free_vgpr 15
		.amdhsa_next_free_sgpr 16
		.amdhsa_reserve_vcc 1
		.amdhsa_float_round_mode_32 0
		.amdhsa_float_round_mode_16_64 0
		.amdhsa_float_denorm_mode_32 3
		.amdhsa_float_denorm_mode_16_64 3
		.amdhsa_dx10_clamp 1
		.amdhsa_ieee_mode 1
		.amdhsa_fp16_overflow 0
		.amdhsa_workgroup_processor_mode 1
		.amdhsa_memory_ordered 1
		.amdhsa_forward_progress 0
		.amdhsa_shared_vgpr_count 0
		.amdhsa_exception_fp_ieee_invalid_op 0
		.amdhsa_exception_fp_denorm_src 0
		.amdhsa_exception_fp_ieee_div_zero 0
		.amdhsa_exception_fp_ieee_overflow 0
		.amdhsa_exception_fp_ieee_underflow 0
		.amdhsa_exception_fp_ieee_inexact 0
		.amdhsa_exception_int_div_zero 0
	.end_amdhsa_kernel
	.section	.text._ZN9rocsparseL23csr2csr_compress_kernelILi1024ELi32ELi32ELi64EdEEvii21rocsparse_index_base_PKT3_PKiS6_iS1_PS2_S6_PiNS_24const_host_device_scalarIS2_EEb,"axG",@progbits,_ZN9rocsparseL23csr2csr_compress_kernelILi1024ELi32ELi32ELi64EdEEvii21rocsparse_index_base_PKT3_PKiS6_iS1_PS2_S6_PiNS_24const_host_device_scalarIS2_EEb,comdat
.Lfunc_end22:
	.size	_ZN9rocsparseL23csr2csr_compress_kernelILi1024ELi32ELi32ELi64EdEEvii21rocsparse_index_base_PKT3_PKiS6_iS1_PS2_S6_PiNS_24const_host_device_scalarIS2_EEb, .Lfunc_end22-_ZN9rocsparseL23csr2csr_compress_kernelILi1024ELi32ELi32ELi64EdEEvii21rocsparse_index_base_PKT3_PKiS6_iS1_PS2_S6_PiNS_24const_host_device_scalarIS2_EEb
                                        ; -- End function
	.section	.AMDGPU.csdata,"",@progbits
; Kernel info:
; codeLenInByte = 668
; NumSgprs: 18
; NumVgprs: 15
; ScratchSize: 0
; MemoryBound: 0
; FloatMode: 240
; IeeeMode: 1
; LDSByteSize: 0 bytes/workgroup (compile time only)
; SGPRBlocks: 2
; VGPRBlocks: 1
; NumSGPRsForWavesPerEU: 18
; NumVGPRsForWavesPerEU: 15
; Occupancy: 16
; WaveLimiterHint : 0
; COMPUTE_PGM_RSRC2:SCRATCH_EN: 0
; COMPUTE_PGM_RSRC2:USER_SGPR: 15
; COMPUTE_PGM_RSRC2:TRAP_HANDLER: 0
; COMPUTE_PGM_RSRC2:TGID_X_EN: 1
; COMPUTE_PGM_RSRC2:TGID_Y_EN: 0
; COMPUTE_PGM_RSRC2:TGID_Z_EN: 0
; COMPUTE_PGM_RSRC2:TIDIG_COMP_CNT: 0
	.section	.text._ZN9rocsparseL23csr2csr_compress_kernelILi1024ELi16ELi64ELi64EdEEvii21rocsparse_index_base_PKT3_PKiS6_iS1_PS2_S6_PiNS_24const_host_device_scalarIS2_EEb,"axG",@progbits,_ZN9rocsparseL23csr2csr_compress_kernelILi1024ELi16ELi64ELi64EdEEvii21rocsparse_index_base_PKT3_PKiS6_iS1_PS2_S6_PiNS_24const_host_device_scalarIS2_EEb,comdat
	.globl	_ZN9rocsparseL23csr2csr_compress_kernelILi1024ELi16ELi64ELi64EdEEvii21rocsparse_index_base_PKT3_PKiS6_iS1_PS2_S6_PiNS_24const_host_device_scalarIS2_EEb ; -- Begin function _ZN9rocsparseL23csr2csr_compress_kernelILi1024ELi16ELi64ELi64EdEEvii21rocsparse_index_base_PKT3_PKiS6_iS1_PS2_S6_PiNS_24const_host_device_scalarIS2_EEb
	.p2align	8
	.type	_ZN9rocsparseL23csr2csr_compress_kernelILi1024ELi16ELi64ELi64EdEEvii21rocsparse_index_base_PKT3_PKiS6_iS1_PS2_S6_PiNS_24const_host_device_scalarIS2_EEb,@function
_ZN9rocsparseL23csr2csr_compress_kernelILi1024ELi16ELi64ELi64EdEEvii21rocsparse_index_base_PKT3_PKiS6_iS1_PS2_S6_PiNS_24const_host_device_scalarIS2_EEb: ; @_ZN9rocsparseL23csr2csr_compress_kernelILi1024ELi16ELi64ELi64EdEEvii21rocsparse_index_base_PKT3_PKiS6_iS1_PS2_S6_PiNS_24const_host_device_scalarIS2_EEb
; %bb.0:
	s_clause 0x1
	s_load_b32 s4, s[0:1], 0x50
	s_load_b64 s[2:3], s[0:1], 0x48
	s_waitcnt lgkmcnt(0)
	s_bitcmp1_b32 s4, 0
	v_dual_mov_b32 v1, s2 :: v_dual_mov_b32 v2, s3
	s_cselect_b32 s4, -1, 0
	s_delay_alu instid0(SALU_CYCLE_1)
	s_and_b32 vcc_lo, exec_lo, s4
	s_cbranch_vccnz .LBB23_2
; %bb.1:
	v_dual_mov_b32 v1, s2 :: v_dual_mov_b32 v2, s3
	flat_load_b64 v[1:2], v[1:2]
.LBB23_2:
	s_load_b32 s2, s[0:1], 0x0
	v_lshrrev_b32_e32 v3, 6, v0
	s_delay_alu instid0(VALU_DEP_1) | instskip(SKIP_1) | instid1(VALU_DEP_1)
	v_lshl_or_b32 v3, s15, 4, v3
	s_waitcnt lgkmcnt(0)
	v_cmp_gt_i32_e32 vcc_lo, s2, v3
	s_and_saveexec_b32 s2, vcc_lo
	s_cbranch_execz .LBB23_8
; %bb.3:
	s_clause 0x1
	s_load_b64 s[2:3], s[0:1], 0x18
	s_load_b32 s6, s[0:1], 0x8
	v_ashrrev_i32_e32 v4, 31, v3
	s_delay_alu instid0(VALU_DEP_1) | instskip(SKIP_1) | instid1(VALU_DEP_1)
	v_lshlrev_b64 v[4:5], 2, v[3:4]
	s_waitcnt lgkmcnt(0)
	v_add_co_u32 v6, vcc_lo, s2, v4
	s_delay_alu instid0(VALU_DEP_2) | instskip(SKIP_2) | instid1(VALU_DEP_1)
	v_add_co_ci_u32_e32 v7, vcc_lo, s3, v5, vcc_lo
	global_load_b64 v[7:8], v[6:7], off
	v_and_b32_e32 v6, 63, v0
	v_subrev_nc_u32_e32 v3, s6, v6
	s_waitcnt vmcnt(0)
	v_subrev_nc_u32_e32 v0, s6, v8
	s_delay_alu instid0(VALU_DEP_2) | instskip(NEXT) | instid1(VALU_DEP_1)
	v_add_nc_u32_e32 v3, v7, v3
	v_cmp_lt_i32_e32 vcc_lo, v3, v0
	s_and_b32 exec_lo, exec_lo, vcc_lo
	s_cbranch_execz .LBB23_8
; %bb.4:
	s_clause 0x1
	s_load_b128 s[8:11], s[0:1], 0x30
	s_load_b64 s[12:13], s[0:1], 0x40
	v_bfrev_b32_e32 v8, 0.5
	s_waitcnt lgkmcnt(0)
	v_add_co_u32 v4, vcc_lo, s10, v4
	v_add_co_ci_u32_e32 v5, vcc_lo, s11, v5, vcc_lo
	s_mov_b32 s10, 0
	global_load_b32 v4, v[4:5], off
	s_clause 0x2
	s_load_b32 s7, s[0:1], 0x2c
	s_load_b64 s[2:3], s[0:1], 0x10
	s_load_b64 s[4:5], s[0:1], 0x20
	v_xor_b32_e32 v5, 63, v6
	s_delay_alu instid0(VALU_DEP_1)
	v_lshrrev_b64 v[5:6], v5, -1
	s_waitcnt lgkmcnt(0)
	s_sub_i32 s1, s7, s6
	s_add_u32 s6, s8, -8
	s_waitcnt vmcnt(0)
	v_subrev_nc_u32_e32 v9, s7, v4
	s_addc_u32 s7, s9, -1
	s_add_u32 s8, s12, -4
	s_addc_u32 s9, s13, -1
	s_branch .LBB23_6
.LBB23_5:                               ;   in Loop: Header=BB23_6 Depth=1
	s_or_b32 exec_lo, exec_lo, s0
	ds_bpermute_b32 v4, v8, v10
	v_add_nc_u32_e32 v3, 64, v3
	s_delay_alu instid0(VALU_DEP_1)
	v_cmp_ge_i32_e32 vcc_lo, v3, v0
	s_or_b32 s10, vcc_lo, s10
	s_waitcnt lgkmcnt(0)
	v_add_nc_u32_e32 v9, v4, v9
	s_and_not1_b32 exec_lo, exec_lo, s10
	s_cbranch_execz .LBB23_8
.LBB23_6:                               ; =>This Inner Loop Header: Depth=1
	v_ashrrev_i32_e32 v4, 31, v3
	s_delay_alu instid0(VALU_DEP_1) | instskip(NEXT) | instid1(VALU_DEP_1)
	v_lshlrev_b64 v[6:7], 3, v[3:4]
	v_add_co_u32 v6, vcc_lo, s2, v6
	s_delay_alu instid0(VALU_DEP_2) | instskip(SKIP_4) | instid1(VALU_DEP_1)
	v_add_co_ci_u32_e32 v7, vcc_lo, s3, v7, vcc_lo
	global_load_b64 v[6:7], v[6:7], off
	s_waitcnt vmcnt(0)
	v_cmp_gt_f64_e32 vcc_lo, 0, v[6:7]
	v_xor_b32_e32 v10, 0x80000000, v7
	v_cndmask_b32_e32 v11, v7, v10, vcc_lo
	v_cndmask_b32_e32 v10, v6, v6, vcc_lo
	s_delay_alu instid0(VALU_DEP_1) | instskip(SKIP_1) | instid1(VALU_DEP_1)
	v_cmp_gt_f64_e32 vcc_lo, v[10:11], v[1:2]
	v_cmp_lt_f64_e64 s0, 0x38100000, v[10:11]
	s_and_b32 s11, vcc_lo, s0
	s_delay_alu instid0(SALU_CYCLE_1) | instskip(NEXT) | instid1(VALU_DEP_1)
	v_cndmask_b32_e64 v10, 0, 1, s11
	v_cmp_ne_u32_e32 vcc_lo, 0, v10
	v_and_b32_e32 v10, vcc_lo, v5
	s_delay_alu instid0(VALU_DEP_1)
	v_bcnt_u32_b32 v10, v10, 0
	s_and_saveexec_b32 s0, s11
	s_cbranch_execz .LBB23_5
; %bb.7:                                ;   in Loop: Header=BB23_6 Depth=1
	v_lshlrev_b64 v[11:12], 2, v[3:4]
	s_delay_alu instid0(VALU_DEP_1) | instskip(NEXT) | instid1(VALU_DEP_2)
	v_add_co_u32 v11, vcc_lo, s4, v11
	v_add_co_ci_u32_e32 v12, vcc_lo, s5, v12, vcc_lo
	global_load_b32 v4, v[11:12], off
	v_ashrrev_i32_e32 v12, 31, v9
	v_add_co_u32 v11, vcc_lo, v9, v10
	s_delay_alu instid0(VALU_DEP_2) | instskip(NEXT) | instid1(VALU_DEP_1)
	v_add_co_ci_u32_e32 v12, vcc_lo, 0, v12, vcc_lo
	v_lshlrev_b64 v[13:14], 3, v[11:12]
	v_lshlrev_b64 v[11:12], 2, v[11:12]
	s_delay_alu instid0(VALU_DEP_2) | instskip(NEXT) | instid1(VALU_DEP_3)
	v_add_co_u32 v13, vcc_lo, s6, v13
	v_add_co_ci_u32_e32 v14, vcc_lo, s7, v14, vcc_lo
	s_delay_alu instid0(VALU_DEP_3) | instskip(NEXT) | instid1(VALU_DEP_4)
	v_add_co_u32 v11, vcc_lo, s8, v11
	v_add_co_ci_u32_e32 v12, vcc_lo, s9, v12, vcc_lo
	s_waitcnt vmcnt(0)
	v_add_nc_u32_e32 v4, s1, v4
	global_store_b64 v[13:14], v[6:7], off
	global_store_b32 v[11:12], v4, off
	s_branch .LBB23_5
.LBB23_8:
	s_nop 0
	s_sendmsg sendmsg(MSG_DEALLOC_VGPRS)
	s_endpgm
	.section	.rodata,"a",@progbits
	.p2align	6, 0x0
	.amdhsa_kernel _ZN9rocsparseL23csr2csr_compress_kernelILi1024ELi16ELi64ELi64EdEEvii21rocsparse_index_base_PKT3_PKiS6_iS1_PS2_S6_PiNS_24const_host_device_scalarIS2_EEb
		.amdhsa_group_segment_fixed_size 0
		.amdhsa_private_segment_fixed_size 0
		.amdhsa_kernarg_size 84
		.amdhsa_user_sgpr_count 15
		.amdhsa_user_sgpr_dispatch_ptr 0
		.amdhsa_user_sgpr_queue_ptr 0
		.amdhsa_user_sgpr_kernarg_segment_ptr 1
		.amdhsa_user_sgpr_dispatch_id 0
		.amdhsa_user_sgpr_private_segment_size 0
		.amdhsa_wavefront_size32 1
		.amdhsa_uses_dynamic_stack 0
		.amdhsa_enable_private_segment 0
		.amdhsa_system_sgpr_workgroup_id_x 1
		.amdhsa_system_sgpr_workgroup_id_y 0
		.amdhsa_system_sgpr_workgroup_id_z 0
		.amdhsa_system_sgpr_workgroup_info 0
		.amdhsa_system_vgpr_workitem_id 0
		.amdhsa_next_free_vgpr 15
		.amdhsa_next_free_sgpr 16
		.amdhsa_reserve_vcc 1
		.amdhsa_float_round_mode_32 0
		.amdhsa_float_round_mode_16_64 0
		.amdhsa_float_denorm_mode_32 3
		.amdhsa_float_denorm_mode_16_64 3
		.amdhsa_dx10_clamp 1
		.amdhsa_ieee_mode 1
		.amdhsa_fp16_overflow 0
		.amdhsa_workgroup_processor_mode 1
		.amdhsa_memory_ordered 1
		.amdhsa_forward_progress 0
		.amdhsa_shared_vgpr_count 0
		.amdhsa_exception_fp_ieee_invalid_op 0
		.amdhsa_exception_fp_denorm_src 0
		.amdhsa_exception_fp_ieee_div_zero 0
		.amdhsa_exception_fp_ieee_overflow 0
		.amdhsa_exception_fp_ieee_underflow 0
		.amdhsa_exception_fp_ieee_inexact 0
		.amdhsa_exception_int_div_zero 0
	.end_amdhsa_kernel
	.section	.text._ZN9rocsparseL23csr2csr_compress_kernelILi1024ELi16ELi64ELi64EdEEvii21rocsparse_index_base_PKT3_PKiS6_iS1_PS2_S6_PiNS_24const_host_device_scalarIS2_EEb,"axG",@progbits,_ZN9rocsparseL23csr2csr_compress_kernelILi1024ELi16ELi64ELi64EdEEvii21rocsparse_index_base_PKT3_PKiS6_iS1_PS2_S6_PiNS_24const_host_device_scalarIS2_EEb,comdat
.Lfunc_end23:
	.size	_ZN9rocsparseL23csr2csr_compress_kernelILi1024ELi16ELi64ELi64EdEEvii21rocsparse_index_base_PKT3_PKiS6_iS1_PS2_S6_PiNS_24const_host_device_scalarIS2_EEb, .Lfunc_end23-_ZN9rocsparseL23csr2csr_compress_kernelILi1024ELi16ELi64ELi64EdEEvii21rocsparse_index_base_PKT3_PKiS6_iS1_PS2_S6_PiNS_24const_host_device_scalarIS2_EEb
                                        ; -- End function
	.section	.AMDGPU.csdata,"",@progbits
; Kernel info:
; codeLenInByte = 652
; NumSgprs: 18
; NumVgprs: 15
; ScratchSize: 0
; MemoryBound: 0
; FloatMode: 240
; IeeeMode: 1
; LDSByteSize: 0 bytes/workgroup (compile time only)
; SGPRBlocks: 2
; VGPRBlocks: 1
; NumSGPRsForWavesPerEU: 18
; NumVGPRsForWavesPerEU: 15
; Occupancy: 16
; WaveLimiterHint : 0
; COMPUTE_PGM_RSRC2:SCRATCH_EN: 0
; COMPUTE_PGM_RSRC2:USER_SGPR: 15
; COMPUTE_PGM_RSRC2:TRAP_HANDLER: 0
; COMPUTE_PGM_RSRC2:TGID_X_EN: 1
; COMPUTE_PGM_RSRC2:TGID_Y_EN: 0
; COMPUTE_PGM_RSRC2:TGID_Z_EN: 0
; COMPUTE_PGM_RSRC2:TIDIG_COMP_CNT: 0
	.text
	.p2alignl 7, 3214868480
	.fill 96, 4, 3214868480
	.type	__hip_cuid_2387c2d5c9c970f7,@object ; @__hip_cuid_2387c2d5c9c970f7
	.section	.bss,"aw",@nobits
	.globl	__hip_cuid_2387c2d5c9c970f7
__hip_cuid_2387c2d5c9c970f7:
	.byte	0                               ; 0x0
	.size	__hip_cuid_2387c2d5c9c970f7, 1

	.ident	"AMD clang version 19.0.0git (https://github.com/RadeonOpenCompute/llvm-project roc-6.4.0 25133 c7fe45cf4b819c5991fe208aaa96edf142730f1d)"
	.section	".note.GNU-stack","",@progbits
	.addrsig
	.addrsig_sym __hip_cuid_2387c2d5c9c970f7
	.amdgpu_metadata
---
amdhsa.kernels:
  - .args:
      - .offset:         0
        .size:           4
        .value_kind:     by_value
      - .address_space:  global
        .offset:         8
        .size:           8
        .value_kind:     global_buffer
      - .address_space:  global
        .offset:         16
        .size:           8
        .value_kind:     global_buffer
    .group_segment_fixed_size: 0
    .kernarg_segment_align: 8
    .kernarg_segment_size: 24
    .language:       OpenCL C
    .language_version:
      - 2
      - 0
    .max_flat_workgroup_size: 256
    .name:           _ZN9rocsparseL10abs_kernelILi256EfEEviPKT0_PS1_
    .private_segment_fixed_size: 0
    .sgpr_count:     18
    .sgpr_spill_count: 0
    .symbol:         _ZN9rocsparseL10abs_kernelILi256EfEEviPKT0_PS1_.kd
    .uniform_work_group_size: 1
    .uses_dynamic_stack: false
    .vgpr_count:     4
    .vgpr_spill_count: 0
    .wavefront_size: 32
    .workgroup_processor_mode: 1
  - .args:
      - .offset:         0
        .size:           4
        .value_kind:     by_value
      - .address_space:  global
        .offset:         8
        .size:           8
        .value_kind:     global_buffer
      - .address_space:  global
        .offset:         16
        .size:           8
        .value_kind:     global_buffer
    .group_segment_fixed_size: 0
    .kernarg_segment_align: 8
    .kernarg_segment_size: 24
    .language:       OpenCL C
    .language_version:
      - 2
      - 0
    .max_flat_workgroup_size: 256
    .name:           _ZN9rocsparseL10abs_kernelILi256EdEEviPKT0_PS1_
    .private_segment_fixed_size: 0
    .sgpr_count:     18
    .sgpr_spill_count: 0
    .symbol:         _ZN9rocsparseL10abs_kernelILi256EdEEviPKT0_PS1_.kd
    .uniform_work_group_size: 1
    .uses_dynamic_stack: false
    .vgpr_count:     5
    .vgpr_spill_count: 0
    .wavefront_size: 32
    .workgroup_processor_mode: 1
  - .args:
      - .offset:         0
        .size:           4
        .value_kind:     by_value
      - .offset:         4
        .size:           4
        .value_kind:     by_value
      - .offset:         8
        .size:           4
        .value_kind:     by_value
      - .actual_access:  read_only
        .address_space:  global
        .offset:         16
        .size:           8
        .value_kind:     global_buffer
      - .actual_access:  read_only
        .address_space:  global
        .offset:         24
        .size:           8
        .value_kind:     global_buffer
      - .actual_access:  read_only
        .address_space:  global
        .offset:         32
        .size:           8
        .value_kind:     global_buffer
      - .offset:         40
        .size:           4
        .value_kind:     by_value
      - .offset:         44
        .size:           4
        .value_kind:     by_value
      - .actual_access:  write_only
        .address_space:  global
        .offset:         48
        .size:           8
        .value_kind:     global_buffer
      - .actual_access:  read_only
        .address_space:  global
        .offset:         56
        .size:           8
        .value_kind:     global_buffer
      - .actual_access:  write_only
        .address_space:  global
        .offset:         64
        .size:           8
        .value_kind:     global_buffer
      - .offset:         72
        .size:           8
        .value_kind:     by_value
      - .offset:         80
        .size:           1
        .value_kind:     by_value
    .group_segment_fixed_size: 0
    .kernarg_segment_align: 8
    .kernarg_segment_size: 84
    .language:       OpenCL C
    .language_version:
      - 2
      - 0
    .max_flat_workgroup_size: 1024
    .name:           _ZN9rocsparseL23csr2csr_compress_kernelILi1024ELi512ELi2ELi32EfEEvii21rocsparse_index_base_PKT3_PKiS6_iS1_PS2_S6_PiNS_24const_host_device_scalarIS2_EEb
    .private_segment_fixed_size: 0
    .sgpr_count:     18
    .sgpr_spill_count: 0
    .symbol:         _ZN9rocsparseL23csr2csr_compress_kernelILi1024ELi512ELi2ELi32EfEEvii21rocsparse_index_base_PKT3_PKiS6_iS1_PS2_S6_PiNS_24const_host_device_scalarIS2_EEb.kd
    .uniform_work_group_size: 1
    .uses_dynamic_stack: false
    .vgpr_count:     12
    .vgpr_spill_count: 0
    .wavefront_size: 32
    .workgroup_processor_mode: 1
  - .args:
      - .offset:         0
        .size:           4
        .value_kind:     by_value
      - .offset:         4
        .size:           4
        .value_kind:     by_value
      - .offset:         8
        .size:           4
        .value_kind:     by_value
      - .actual_access:  read_only
        .address_space:  global
        .offset:         16
        .size:           8
        .value_kind:     global_buffer
      - .actual_access:  read_only
        .address_space:  global
        .offset:         24
        .size:           8
        .value_kind:     global_buffer
      - .actual_access:  read_only
        .address_space:  global
        .offset:         32
        .size:           8
        .value_kind:     global_buffer
      - .offset:         40
        .size:           4
        .value_kind:     by_value
      - .offset:         44
        .size:           4
        .value_kind:     by_value
      - .actual_access:  write_only
        .address_space:  global
        .offset:         48
        .size:           8
        .value_kind:     global_buffer
      - .actual_access:  read_only
        .address_space:  global
        .offset:         56
        .size:           8
        .value_kind:     global_buffer
      - .actual_access:  write_only
        .address_space:  global
        .offset:         64
        .size:           8
        .value_kind:     global_buffer
      - .offset:         72
        .size:           8
        .value_kind:     by_value
      - .offset:         80
        .size:           1
        .value_kind:     by_value
    .group_segment_fixed_size: 0
    .kernarg_segment_align: 8
    .kernarg_segment_size: 84
    .language:       OpenCL C
    .language_version:
      - 2
      - 0
    .max_flat_workgroup_size: 1024
    .name:           _ZN9rocsparseL23csr2csr_compress_kernelILi1024ELi256ELi4ELi32EfEEvii21rocsparse_index_base_PKT3_PKiS6_iS1_PS2_S6_PiNS_24const_host_device_scalarIS2_EEb
    .private_segment_fixed_size: 0
    .sgpr_count:     18
    .sgpr_spill_count: 0
    .symbol:         _ZN9rocsparseL23csr2csr_compress_kernelILi1024ELi256ELi4ELi32EfEEvii21rocsparse_index_base_PKT3_PKiS6_iS1_PS2_S6_PiNS_24const_host_device_scalarIS2_EEb.kd
    .uniform_work_group_size: 1
    .uses_dynamic_stack: false
    .vgpr_count:     12
    .vgpr_spill_count: 0
    .wavefront_size: 32
    .workgroup_processor_mode: 1
  - .args:
      - .offset:         0
        .size:           4
        .value_kind:     by_value
      - .offset:         4
        .size:           4
        .value_kind:     by_value
      - .offset:         8
        .size:           4
        .value_kind:     by_value
      - .actual_access:  read_only
        .address_space:  global
        .offset:         16
        .size:           8
        .value_kind:     global_buffer
      - .actual_access:  read_only
        .address_space:  global
        .offset:         24
        .size:           8
        .value_kind:     global_buffer
      - .actual_access:  read_only
        .address_space:  global
        .offset:         32
        .size:           8
        .value_kind:     global_buffer
      - .offset:         40
        .size:           4
        .value_kind:     by_value
      - .offset:         44
        .size:           4
        .value_kind:     by_value
      - .actual_access:  write_only
        .address_space:  global
        .offset:         48
        .size:           8
        .value_kind:     global_buffer
      - .actual_access:  read_only
        .address_space:  global
        .offset:         56
        .size:           8
        .value_kind:     global_buffer
      - .actual_access:  write_only
        .address_space:  global
        .offset:         64
        .size:           8
        .value_kind:     global_buffer
      - .offset:         72
        .size:           8
        .value_kind:     by_value
      - .offset:         80
        .size:           1
        .value_kind:     by_value
    .group_segment_fixed_size: 0
    .kernarg_segment_align: 8
    .kernarg_segment_size: 84
    .language:       OpenCL C
    .language_version:
      - 2
      - 0
    .max_flat_workgroup_size: 1024
    .name:           _ZN9rocsparseL23csr2csr_compress_kernelILi1024ELi128ELi8ELi32EfEEvii21rocsparse_index_base_PKT3_PKiS6_iS1_PS2_S6_PiNS_24const_host_device_scalarIS2_EEb
    .private_segment_fixed_size: 0
    .sgpr_count:     18
    .sgpr_spill_count: 0
    .symbol:         _ZN9rocsparseL23csr2csr_compress_kernelILi1024ELi128ELi8ELi32EfEEvii21rocsparse_index_base_PKT3_PKiS6_iS1_PS2_S6_PiNS_24const_host_device_scalarIS2_EEb.kd
    .uniform_work_group_size: 1
    .uses_dynamic_stack: false
    .vgpr_count:     12
    .vgpr_spill_count: 0
    .wavefront_size: 32
    .workgroup_processor_mode: 1
  - .args:
      - .offset:         0
        .size:           4
        .value_kind:     by_value
      - .offset:         4
        .size:           4
        .value_kind:     by_value
      - .offset:         8
        .size:           4
        .value_kind:     by_value
      - .actual_access:  read_only
        .address_space:  global
        .offset:         16
        .size:           8
        .value_kind:     global_buffer
      - .actual_access:  read_only
        .address_space:  global
        .offset:         24
        .size:           8
        .value_kind:     global_buffer
      - .actual_access:  read_only
        .address_space:  global
        .offset:         32
        .size:           8
        .value_kind:     global_buffer
      - .offset:         40
        .size:           4
        .value_kind:     by_value
      - .offset:         44
        .size:           4
        .value_kind:     by_value
      - .actual_access:  write_only
        .address_space:  global
        .offset:         48
        .size:           8
        .value_kind:     global_buffer
      - .actual_access:  read_only
        .address_space:  global
        .offset:         56
        .size:           8
        .value_kind:     global_buffer
      - .actual_access:  write_only
        .address_space:  global
        .offset:         64
        .size:           8
        .value_kind:     global_buffer
      - .offset:         72
        .size:           8
        .value_kind:     by_value
      - .offset:         80
        .size:           1
        .value_kind:     by_value
    .group_segment_fixed_size: 0
    .kernarg_segment_align: 8
    .kernarg_segment_size: 84
    .language:       OpenCL C
    .language_version:
      - 2
      - 0
    .max_flat_workgroup_size: 1024
    .name:           _ZN9rocsparseL23csr2csr_compress_kernelILi1024ELi64ELi16ELi32EfEEvii21rocsparse_index_base_PKT3_PKiS6_iS1_PS2_S6_PiNS_24const_host_device_scalarIS2_EEb
    .private_segment_fixed_size: 0
    .sgpr_count:     18
    .sgpr_spill_count: 0
    .symbol:         _ZN9rocsparseL23csr2csr_compress_kernelILi1024ELi64ELi16ELi32EfEEvii21rocsparse_index_base_PKT3_PKiS6_iS1_PS2_S6_PiNS_24const_host_device_scalarIS2_EEb.kd
    .uniform_work_group_size: 1
    .uses_dynamic_stack: false
    .vgpr_count:     12
    .vgpr_spill_count: 0
    .wavefront_size: 32
    .workgroup_processor_mode: 1
  - .args:
      - .offset:         0
        .size:           4
        .value_kind:     by_value
      - .offset:         4
        .size:           4
        .value_kind:     by_value
      - .offset:         8
        .size:           4
        .value_kind:     by_value
      - .actual_access:  read_only
        .address_space:  global
        .offset:         16
        .size:           8
        .value_kind:     global_buffer
      - .actual_access:  read_only
        .address_space:  global
        .offset:         24
        .size:           8
        .value_kind:     global_buffer
      - .actual_access:  read_only
        .address_space:  global
        .offset:         32
        .size:           8
        .value_kind:     global_buffer
      - .offset:         40
        .size:           4
        .value_kind:     by_value
      - .offset:         44
        .size:           4
        .value_kind:     by_value
      - .actual_access:  write_only
        .address_space:  global
        .offset:         48
        .size:           8
        .value_kind:     global_buffer
      - .actual_access:  read_only
        .address_space:  global
        .offset:         56
        .size:           8
        .value_kind:     global_buffer
      - .actual_access:  write_only
        .address_space:  global
        .offset:         64
        .size:           8
        .value_kind:     global_buffer
      - .offset:         72
        .size:           8
        .value_kind:     by_value
      - .offset:         80
        .size:           1
        .value_kind:     by_value
    .group_segment_fixed_size: 0
    .kernarg_segment_align: 8
    .kernarg_segment_size: 84
    .language:       OpenCL C
    .language_version:
      - 2
      - 0
    .max_flat_workgroup_size: 1024
    .name:           _ZN9rocsparseL23csr2csr_compress_kernelILi1024ELi32ELi32ELi32EfEEvii21rocsparse_index_base_PKT3_PKiS6_iS1_PS2_S6_PiNS_24const_host_device_scalarIS2_EEb
    .private_segment_fixed_size: 0
    .sgpr_count:     18
    .sgpr_spill_count: 0
    .symbol:         _ZN9rocsparseL23csr2csr_compress_kernelILi1024ELi32ELi32ELi32EfEEvii21rocsparse_index_base_PKT3_PKiS6_iS1_PS2_S6_PiNS_24const_host_device_scalarIS2_EEb.kd
    .uniform_work_group_size: 1
    .uses_dynamic_stack: false
    .vgpr_count:     12
    .vgpr_spill_count: 0
    .wavefront_size: 32
    .workgroup_processor_mode: 1
  - .args:
      - .offset:         0
        .size:           4
        .value_kind:     by_value
      - .offset:         4
        .size:           4
        .value_kind:     by_value
      - .offset:         8
        .size:           4
        .value_kind:     by_value
      - .actual_access:  read_only
        .address_space:  global
        .offset:         16
        .size:           8
        .value_kind:     global_buffer
      - .actual_access:  read_only
        .address_space:  global
        .offset:         24
        .size:           8
        .value_kind:     global_buffer
      - .actual_access:  read_only
        .address_space:  global
        .offset:         32
        .size:           8
        .value_kind:     global_buffer
      - .offset:         40
        .size:           4
        .value_kind:     by_value
      - .offset:         44
        .size:           4
        .value_kind:     by_value
      - .actual_access:  write_only
        .address_space:  global
        .offset:         48
        .size:           8
        .value_kind:     global_buffer
      - .actual_access:  read_only
        .address_space:  global
        .offset:         56
        .size:           8
        .value_kind:     global_buffer
      - .actual_access:  write_only
        .address_space:  global
        .offset:         64
        .size:           8
        .value_kind:     global_buffer
      - .offset:         72
        .size:           8
        .value_kind:     by_value
      - .offset:         80
        .size:           1
        .value_kind:     by_value
    .group_segment_fixed_size: 0
    .kernarg_segment_align: 8
    .kernarg_segment_size: 84
    .language:       OpenCL C
    .language_version:
      - 2
      - 0
    .max_flat_workgroup_size: 1024
    .name:           _ZN9rocsparseL23csr2csr_compress_kernelILi1024ELi512ELi2ELi64EfEEvii21rocsparse_index_base_PKT3_PKiS6_iS1_PS2_S6_PiNS_24const_host_device_scalarIS2_EEb
    .private_segment_fixed_size: 0
    .sgpr_count:     18
    .sgpr_spill_count: 0
    .symbol:         _ZN9rocsparseL23csr2csr_compress_kernelILi1024ELi512ELi2ELi64EfEEvii21rocsparse_index_base_PKT3_PKiS6_iS1_PS2_S6_PiNS_24const_host_device_scalarIS2_EEb.kd
    .uniform_work_group_size: 1
    .uses_dynamic_stack: false
    .vgpr_count:     12
    .vgpr_spill_count: 0
    .wavefront_size: 32
    .workgroup_processor_mode: 1
  - .args:
      - .offset:         0
        .size:           4
        .value_kind:     by_value
      - .offset:         4
        .size:           4
        .value_kind:     by_value
      - .offset:         8
        .size:           4
        .value_kind:     by_value
      - .actual_access:  read_only
        .address_space:  global
        .offset:         16
        .size:           8
        .value_kind:     global_buffer
      - .actual_access:  read_only
        .address_space:  global
        .offset:         24
        .size:           8
        .value_kind:     global_buffer
      - .actual_access:  read_only
        .address_space:  global
        .offset:         32
        .size:           8
        .value_kind:     global_buffer
      - .offset:         40
        .size:           4
        .value_kind:     by_value
      - .offset:         44
        .size:           4
        .value_kind:     by_value
      - .actual_access:  write_only
        .address_space:  global
        .offset:         48
        .size:           8
        .value_kind:     global_buffer
      - .actual_access:  read_only
        .address_space:  global
        .offset:         56
        .size:           8
        .value_kind:     global_buffer
      - .actual_access:  write_only
        .address_space:  global
        .offset:         64
        .size:           8
        .value_kind:     global_buffer
      - .offset:         72
        .size:           8
        .value_kind:     by_value
      - .offset:         80
        .size:           1
        .value_kind:     by_value
    .group_segment_fixed_size: 0
    .kernarg_segment_align: 8
    .kernarg_segment_size: 84
    .language:       OpenCL C
    .language_version:
      - 2
      - 0
    .max_flat_workgroup_size: 1024
    .name:           _ZN9rocsparseL23csr2csr_compress_kernelILi1024ELi256ELi4ELi64EfEEvii21rocsparse_index_base_PKT3_PKiS6_iS1_PS2_S6_PiNS_24const_host_device_scalarIS2_EEb
    .private_segment_fixed_size: 0
    .sgpr_count:     18
    .sgpr_spill_count: 0
    .symbol:         _ZN9rocsparseL23csr2csr_compress_kernelILi1024ELi256ELi4ELi64EfEEvii21rocsparse_index_base_PKT3_PKiS6_iS1_PS2_S6_PiNS_24const_host_device_scalarIS2_EEb.kd
    .uniform_work_group_size: 1
    .uses_dynamic_stack: false
    .vgpr_count:     12
    .vgpr_spill_count: 0
    .wavefront_size: 32
    .workgroup_processor_mode: 1
  - .args:
      - .offset:         0
        .size:           4
        .value_kind:     by_value
      - .offset:         4
        .size:           4
        .value_kind:     by_value
      - .offset:         8
        .size:           4
        .value_kind:     by_value
      - .actual_access:  read_only
        .address_space:  global
        .offset:         16
        .size:           8
        .value_kind:     global_buffer
      - .actual_access:  read_only
        .address_space:  global
        .offset:         24
        .size:           8
        .value_kind:     global_buffer
      - .actual_access:  read_only
        .address_space:  global
        .offset:         32
        .size:           8
        .value_kind:     global_buffer
      - .offset:         40
        .size:           4
        .value_kind:     by_value
      - .offset:         44
        .size:           4
        .value_kind:     by_value
      - .actual_access:  write_only
        .address_space:  global
        .offset:         48
        .size:           8
        .value_kind:     global_buffer
      - .actual_access:  read_only
        .address_space:  global
        .offset:         56
        .size:           8
        .value_kind:     global_buffer
      - .actual_access:  write_only
        .address_space:  global
        .offset:         64
        .size:           8
        .value_kind:     global_buffer
      - .offset:         72
        .size:           8
        .value_kind:     by_value
      - .offset:         80
        .size:           1
        .value_kind:     by_value
    .group_segment_fixed_size: 0
    .kernarg_segment_align: 8
    .kernarg_segment_size: 84
    .language:       OpenCL C
    .language_version:
      - 2
      - 0
    .max_flat_workgroup_size: 1024
    .name:           _ZN9rocsparseL23csr2csr_compress_kernelILi1024ELi128ELi8ELi64EfEEvii21rocsparse_index_base_PKT3_PKiS6_iS1_PS2_S6_PiNS_24const_host_device_scalarIS2_EEb
    .private_segment_fixed_size: 0
    .sgpr_count:     18
    .sgpr_spill_count: 0
    .symbol:         _ZN9rocsparseL23csr2csr_compress_kernelILi1024ELi128ELi8ELi64EfEEvii21rocsparse_index_base_PKT3_PKiS6_iS1_PS2_S6_PiNS_24const_host_device_scalarIS2_EEb.kd
    .uniform_work_group_size: 1
    .uses_dynamic_stack: false
    .vgpr_count:     12
    .vgpr_spill_count: 0
    .wavefront_size: 32
    .workgroup_processor_mode: 1
  - .args:
      - .offset:         0
        .size:           4
        .value_kind:     by_value
      - .offset:         4
        .size:           4
        .value_kind:     by_value
      - .offset:         8
        .size:           4
        .value_kind:     by_value
      - .actual_access:  read_only
        .address_space:  global
        .offset:         16
        .size:           8
        .value_kind:     global_buffer
      - .actual_access:  read_only
        .address_space:  global
        .offset:         24
        .size:           8
        .value_kind:     global_buffer
      - .actual_access:  read_only
        .address_space:  global
        .offset:         32
        .size:           8
        .value_kind:     global_buffer
      - .offset:         40
        .size:           4
        .value_kind:     by_value
      - .offset:         44
        .size:           4
        .value_kind:     by_value
      - .actual_access:  write_only
        .address_space:  global
        .offset:         48
        .size:           8
        .value_kind:     global_buffer
      - .actual_access:  read_only
        .address_space:  global
        .offset:         56
        .size:           8
        .value_kind:     global_buffer
      - .actual_access:  write_only
        .address_space:  global
        .offset:         64
        .size:           8
        .value_kind:     global_buffer
      - .offset:         72
        .size:           8
        .value_kind:     by_value
      - .offset:         80
        .size:           1
        .value_kind:     by_value
    .group_segment_fixed_size: 0
    .kernarg_segment_align: 8
    .kernarg_segment_size: 84
    .language:       OpenCL C
    .language_version:
      - 2
      - 0
    .max_flat_workgroup_size: 1024
    .name:           _ZN9rocsparseL23csr2csr_compress_kernelILi1024ELi64ELi16ELi64EfEEvii21rocsparse_index_base_PKT3_PKiS6_iS1_PS2_S6_PiNS_24const_host_device_scalarIS2_EEb
    .private_segment_fixed_size: 0
    .sgpr_count:     18
    .sgpr_spill_count: 0
    .symbol:         _ZN9rocsparseL23csr2csr_compress_kernelILi1024ELi64ELi16ELi64EfEEvii21rocsparse_index_base_PKT3_PKiS6_iS1_PS2_S6_PiNS_24const_host_device_scalarIS2_EEb.kd
    .uniform_work_group_size: 1
    .uses_dynamic_stack: false
    .vgpr_count:     12
    .vgpr_spill_count: 0
    .wavefront_size: 32
    .workgroup_processor_mode: 1
  - .args:
      - .offset:         0
        .size:           4
        .value_kind:     by_value
      - .offset:         4
        .size:           4
        .value_kind:     by_value
      - .offset:         8
        .size:           4
        .value_kind:     by_value
      - .actual_access:  read_only
        .address_space:  global
        .offset:         16
        .size:           8
        .value_kind:     global_buffer
      - .actual_access:  read_only
        .address_space:  global
        .offset:         24
        .size:           8
        .value_kind:     global_buffer
      - .actual_access:  read_only
        .address_space:  global
        .offset:         32
        .size:           8
        .value_kind:     global_buffer
      - .offset:         40
        .size:           4
        .value_kind:     by_value
      - .offset:         44
        .size:           4
        .value_kind:     by_value
      - .actual_access:  write_only
        .address_space:  global
        .offset:         48
        .size:           8
        .value_kind:     global_buffer
      - .actual_access:  read_only
        .address_space:  global
        .offset:         56
        .size:           8
        .value_kind:     global_buffer
      - .actual_access:  write_only
        .address_space:  global
        .offset:         64
        .size:           8
        .value_kind:     global_buffer
      - .offset:         72
        .size:           8
        .value_kind:     by_value
      - .offset:         80
        .size:           1
        .value_kind:     by_value
    .group_segment_fixed_size: 0
    .kernarg_segment_align: 8
    .kernarg_segment_size: 84
    .language:       OpenCL C
    .language_version:
      - 2
      - 0
    .max_flat_workgroup_size: 1024
    .name:           _ZN9rocsparseL23csr2csr_compress_kernelILi1024ELi32ELi32ELi64EfEEvii21rocsparse_index_base_PKT3_PKiS6_iS1_PS2_S6_PiNS_24const_host_device_scalarIS2_EEb
    .private_segment_fixed_size: 0
    .sgpr_count:     18
    .sgpr_spill_count: 0
    .symbol:         _ZN9rocsparseL23csr2csr_compress_kernelILi1024ELi32ELi32ELi64EfEEvii21rocsparse_index_base_PKT3_PKiS6_iS1_PS2_S6_PiNS_24const_host_device_scalarIS2_EEb.kd
    .uniform_work_group_size: 1
    .uses_dynamic_stack: false
    .vgpr_count:     12
    .vgpr_spill_count: 0
    .wavefront_size: 32
    .workgroup_processor_mode: 1
  - .args:
      - .offset:         0
        .size:           4
        .value_kind:     by_value
      - .offset:         4
        .size:           4
        .value_kind:     by_value
      - .offset:         8
        .size:           4
        .value_kind:     by_value
      - .actual_access:  read_only
        .address_space:  global
        .offset:         16
        .size:           8
        .value_kind:     global_buffer
      - .actual_access:  read_only
        .address_space:  global
        .offset:         24
        .size:           8
        .value_kind:     global_buffer
      - .actual_access:  read_only
        .address_space:  global
        .offset:         32
        .size:           8
        .value_kind:     global_buffer
      - .offset:         40
        .size:           4
        .value_kind:     by_value
      - .offset:         44
        .size:           4
        .value_kind:     by_value
      - .actual_access:  write_only
        .address_space:  global
        .offset:         48
        .size:           8
        .value_kind:     global_buffer
      - .actual_access:  read_only
        .address_space:  global
        .offset:         56
        .size:           8
        .value_kind:     global_buffer
      - .actual_access:  write_only
        .address_space:  global
        .offset:         64
        .size:           8
        .value_kind:     global_buffer
      - .offset:         72
        .size:           8
        .value_kind:     by_value
      - .offset:         80
        .size:           1
        .value_kind:     by_value
    .group_segment_fixed_size: 0
    .kernarg_segment_align: 8
    .kernarg_segment_size: 84
    .language:       OpenCL C
    .language_version:
      - 2
      - 0
    .max_flat_workgroup_size: 1024
    .name:           _ZN9rocsparseL23csr2csr_compress_kernelILi1024ELi16ELi64ELi64EfEEvii21rocsparse_index_base_PKT3_PKiS6_iS1_PS2_S6_PiNS_24const_host_device_scalarIS2_EEb
    .private_segment_fixed_size: 0
    .sgpr_count:     18
    .sgpr_spill_count: 0
    .symbol:         _ZN9rocsparseL23csr2csr_compress_kernelILi1024ELi16ELi64ELi64EfEEvii21rocsparse_index_base_PKT3_PKiS6_iS1_PS2_S6_PiNS_24const_host_device_scalarIS2_EEb.kd
    .uniform_work_group_size: 1
    .uses_dynamic_stack: false
    .vgpr_count:     12
    .vgpr_spill_count: 0
    .wavefront_size: 32
    .workgroup_processor_mode: 1
  - .args:
      - .offset:         0
        .size:           4
        .value_kind:     by_value
      - .offset:         4
        .size:           4
        .value_kind:     by_value
      - .offset:         8
        .size:           4
        .value_kind:     by_value
      - .actual_access:  read_only
        .address_space:  global
        .offset:         16
        .size:           8
        .value_kind:     global_buffer
      - .actual_access:  read_only
        .address_space:  global
        .offset:         24
        .size:           8
        .value_kind:     global_buffer
      - .actual_access:  read_only
        .address_space:  global
        .offset:         32
        .size:           8
        .value_kind:     global_buffer
      - .offset:         40
        .size:           4
        .value_kind:     by_value
      - .offset:         44
        .size:           4
        .value_kind:     by_value
      - .actual_access:  write_only
        .address_space:  global
        .offset:         48
        .size:           8
        .value_kind:     global_buffer
      - .actual_access:  read_only
        .address_space:  global
        .offset:         56
        .size:           8
        .value_kind:     global_buffer
      - .actual_access:  write_only
        .address_space:  global
        .offset:         64
        .size:           8
        .value_kind:     global_buffer
      - .offset:         72
        .size:           8
        .value_kind:     by_value
      - .offset:         80
        .size:           1
        .value_kind:     by_value
    .group_segment_fixed_size: 0
    .kernarg_segment_align: 8
    .kernarg_segment_size: 84
    .language:       OpenCL C
    .language_version:
      - 2
      - 0
    .max_flat_workgroup_size: 1024
    .name:           _ZN9rocsparseL23csr2csr_compress_kernelILi1024ELi512ELi2ELi32EdEEvii21rocsparse_index_base_PKT3_PKiS6_iS1_PS2_S6_PiNS_24const_host_device_scalarIS2_EEb
    .private_segment_fixed_size: 0
    .sgpr_count:     18
    .sgpr_spill_count: 0
    .symbol:         _ZN9rocsparseL23csr2csr_compress_kernelILi1024ELi512ELi2ELi32EdEEvii21rocsparse_index_base_PKT3_PKiS6_iS1_PS2_S6_PiNS_24const_host_device_scalarIS2_EEb.kd
    .uniform_work_group_size: 1
    .uses_dynamic_stack: false
    .vgpr_count:     15
    .vgpr_spill_count: 0
    .wavefront_size: 32
    .workgroup_processor_mode: 1
  - .args:
      - .offset:         0
        .size:           4
        .value_kind:     by_value
      - .offset:         4
        .size:           4
        .value_kind:     by_value
      - .offset:         8
        .size:           4
        .value_kind:     by_value
      - .actual_access:  read_only
        .address_space:  global
        .offset:         16
        .size:           8
        .value_kind:     global_buffer
      - .actual_access:  read_only
        .address_space:  global
        .offset:         24
        .size:           8
        .value_kind:     global_buffer
      - .actual_access:  read_only
        .address_space:  global
        .offset:         32
        .size:           8
        .value_kind:     global_buffer
      - .offset:         40
        .size:           4
        .value_kind:     by_value
      - .offset:         44
        .size:           4
        .value_kind:     by_value
      - .actual_access:  write_only
        .address_space:  global
        .offset:         48
        .size:           8
        .value_kind:     global_buffer
      - .actual_access:  read_only
        .address_space:  global
        .offset:         56
        .size:           8
        .value_kind:     global_buffer
      - .actual_access:  write_only
        .address_space:  global
        .offset:         64
        .size:           8
        .value_kind:     global_buffer
      - .offset:         72
        .size:           8
        .value_kind:     by_value
      - .offset:         80
        .size:           1
        .value_kind:     by_value
    .group_segment_fixed_size: 0
    .kernarg_segment_align: 8
    .kernarg_segment_size: 84
    .language:       OpenCL C
    .language_version:
      - 2
      - 0
    .max_flat_workgroup_size: 1024
    .name:           _ZN9rocsparseL23csr2csr_compress_kernelILi1024ELi256ELi4ELi32EdEEvii21rocsparse_index_base_PKT3_PKiS6_iS1_PS2_S6_PiNS_24const_host_device_scalarIS2_EEb
    .private_segment_fixed_size: 0
    .sgpr_count:     18
    .sgpr_spill_count: 0
    .symbol:         _ZN9rocsparseL23csr2csr_compress_kernelILi1024ELi256ELi4ELi32EdEEvii21rocsparse_index_base_PKT3_PKiS6_iS1_PS2_S6_PiNS_24const_host_device_scalarIS2_EEb.kd
    .uniform_work_group_size: 1
    .uses_dynamic_stack: false
    .vgpr_count:     15
    .vgpr_spill_count: 0
    .wavefront_size: 32
    .workgroup_processor_mode: 1
  - .args:
      - .offset:         0
        .size:           4
        .value_kind:     by_value
      - .offset:         4
        .size:           4
        .value_kind:     by_value
      - .offset:         8
        .size:           4
        .value_kind:     by_value
      - .actual_access:  read_only
        .address_space:  global
        .offset:         16
        .size:           8
        .value_kind:     global_buffer
      - .actual_access:  read_only
        .address_space:  global
        .offset:         24
        .size:           8
        .value_kind:     global_buffer
      - .actual_access:  read_only
        .address_space:  global
        .offset:         32
        .size:           8
        .value_kind:     global_buffer
      - .offset:         40
        .size:           4
        .value_kind:     by_value
      - .offset:         44
        .size:           4
        .value_kind:     by_value
      - .actual_access:  write_only
        .address_space:  global
        .offset:         48
        .size:           8
        .value_kind:     global_buffer
      - .actual_access:  read_only
        .address_space:  global
        .offset:         56
        .size:           8
        .value_kind:     global_buffer
      - .actual_access:  write_only
        .address_space:  global
        .offset:         64
        .size:           8
        .value_kind:     global_buffer
      - .offset:         72
        .size:           8
        .value_kind:     by_value
      - .offset:         80
        .size:           1
        .value_kind:     by_value
    .group_segment_fixed_size: 0
    .kernarg_segment_align: 8
    .kernarg_segment_size: 84
    .language:       OpenCL C
    .language_version:
      - 2
      - 0
    .max_flat_workgroup_size: 1024
    .name:           _ZN9rocsparseL23csr2csr_compress_kernelILi1024ELi128ELi8ELi32EdEEvii21rocsparse_index_base_PKT3_PKiS6_iS1_PS2_S6_PiNS_24const_host_device_scalarIS2_EEb
    .private_segment_fixed_size: 0
    .sgpr_count:     18
    .sgpr_spill_count: 0
    .symbol:         _ZN9rocsparseL23csr2csr_compress_kernelILi1024ELi128ELi8ELi32EdEEvii21rocsparse_index_base_PKT3_PKiS6_iS1_PS2_S6_PiNS_24const_host_device_scalarIS2_EEb.kd
    .uniform_work_group_size: 1
    .uses_dynamic_stack: false
    .vgpr_count:     15
    .vgpr_spill_count: 0
    .wavefront_size: 32
    .workgroup_processor_mode: 1
  - .args:
      - .offset:         0
        .size:           4
        .value_kind:     by_value
      - .offset:         4
        .size:           4
        .value_kind:     by_value
      - .offset:         8
        .size:           4
        .value_kind:     by_value
      - .actual_access:  read_only
        .address_space:  global
        .offset:         16
        .size:           8
        .value_kind:     global_buffer
      - .actual_access:  read_only
        .address_space:  global
        .offset:         24
        .size:           8
        .value_kind:     global_buffer
      - .actual_access:  read_only
        .address_space:  global
        .offset:         32
        .size:           8
        .value_kind:     global_buffer
      - .offset:         40
        .size:           4
        .value_kind:     by_value
      - .offset:         44
        .size:           4
        .value_kind:     by_value
      - .actual_access:  write_only
        .address_space:  global
        .offset:         48
        .size:           8
        .value_kind:     global_buffer
      - .actual_access:  read_only
        .address_space:  global
        .offset:         56
        .size:           8
        .value_kind:     global_buffer
      - .actual_access:  write_only
        .address_space:  global
        .offset:         64
        .size:           8
        .value_kind:     global_buffer
      - .offset:         72
        .size:           8
        .value_kind:     by_value
      - .offset:         80
        .size:           1
        .value_kind:     by_value
    .group_segment_fixed_size: 0
    .kernarg_segment_align: 8
    .kernarg_segment_size: 84
    .language:       OpenCL C
    .language_version:
      - 2
      - 0
    .max_flat_workgroup_size: 1024
    .name:           _ZN9rocsparseL23csr2csr_compress_kernelILi1024ELi64ELi16ELi32EdEEvii21rocsparse_index_base_PKT3_PKiS6_iS1_PS2_S6_PiNS_24const_host_device_scalarIS2_EEb
    .private_segment_fixed_size: 0
    .sgpr_count:     18
    .sgpr_spill_count: 0
    .symbol:         _ZN9rocsparseL23csr2csr_compress_kernelILi1024ELi64ELi16ELi32EdEEvii21rocsparse_index_base_PKT3_PKiS6_iS1_PS2_S6_PiNS_24const_host_device_scalarIS2_EEb.kd
    .uniform_work_group_size: 1
    .uses_dynamic_stack: false
    .vgpr_count:     15
    .vgpr_spill_count: 0
    .wavefront_size: 32
    .workgroup_processor_mode: 1
  - .args:
      - .offset:         0
        .size:           4
        .value_kind:     by_value
      - .offset:         4
        .size:           4
        .value_kind:     by_value
      - .offset:         8
        .size:           4
        .value_kind:     by_value
      - .actual_access:  read_only
        .address_space:  global
        .offset:         16
        .size:           8
        .value_kind:     global_buffer
      - .actual_access:  read_only
        .address_space:  global
        .offset:         24
        .size:           8
        .value_kind:     global_buffer
      - .actual_access:  read_only
        .address_space:  global
        .offset:         32
        .size:           8
        .value_kind:     global_buffer
      - .offset:         40
        .size:           4
        .value_kind:     by_value
      - .offset:         44
        .size:           4
        .value_kind:     by_value
      - .actual_access:  write_only
        .address_space:  global
        .offset:         48
        .size:           8
        .value_kind:     global_buffer
      - .actual_access:  read_only
        .address_space:  global
        .offset:         56
        .size:           8
        .value_kind:     global_buffer
      - .actual_access:  write_only
        .address_space:  global
        .offset:         64
        .size:           8
        .value_kind:     global_buffer
      - .offset:         72
        .size:           8
        .value_kind:     by_value
      - .offset:         80
        .size:           1
        .value_kind:     by_value
    .group_segment_fixed_size: 0
    .kernarg_segment_align: 8
    .kernarg_segment_size: 84
    .language:       OpenCL C
    .language_version:
      - 2
      - 0
    .max_flat_workgroup_size: 1024
    .name:           _ZN9rocsparseL23csr2csr_compress_kernelILi1024ELi32ELi32ELi32EdEEvii21rocsparse_index_base_PKT3_PKiS6_iS1_PS2_S6_PiNS_24const_host_device_scalarIS2_EEb
    .private_segment_fixed_size: 0
    .sgpr_count:     18
    .sgpr_spill_count: 0
    .symbol:         _ZN9rocsparseL23csr2csr_compress_kernelILi1024ELi32ELi32ELi32EdEEvii21rocsparse_index_base_PKT3_PKiS6_iS1_PS2_S6_PiNS_24const_host_device_scalarIS2_EEb.kd
    .uniform_work_group_size: 1
    .uses_dynamic_stack: false
    .vgpr_count:     15
    .vgpr_spill_count: 0
    .wavefront_size: 32
    .workgroup_processor_mode: 1
  - .args:
      - .offset:         0
        .size:           4
        .value_kind:     by_value
      - .offset:         4
        .size:           4
        .value_kind:     by_value
      - .offset:         8
        .size:           4
        .value_kind:     by_value
      - .actual_access:  read_only
        .address_space:  global
        .offset:         16
        .size:           8
        .value_kind:     global_buffer
      - .actual_access:  read_only
        .address_space:  global
        .offset:         24
        .size:           8
        .value_kind:     global_buffer
      - .actual_access:  read_only
        .address_space:  global
        .offset:         32
        .size:           8
        .value_kind:     global_buffer
      - .offset:         40
        .size:           4
        .value_kind:     by_value
      - .offset:         44
        .size:           4
        .value_kind:     by_value
      - .actual_access:  write_only
        .address_space:  global
        .offset:         48
        .size:           8
        .value_kind:     global_buffer
      - .actual_access:  read_only
        .address_space:  global
        .offset:         56
        .size:           8
        .value_kind:     global_buffer
      - .actual_access:  write_only
        .address_space:  global
        .offset:         64
        .size:           8
        .value_kind:     global_buffer
      - .offset:         72
        .size:           8
        .value_kind:     by_value
      - .offset:         80
        .size:           1
        .value_kind:     by_value
    .group_segment_fixed_size: 0
    .kernarg_segment_align: 8
    .kernarg_segment_size: 84
    .language:       OpenCL C
    .language_version:
      - 2
      - 0
    .max_flat_workgroup_size: 1024
    .name:           _ZN9rocsparseL23csr2csr_compress_kernelILi1024ELi512ELi2ELi64EdEEvii21rocsparse_index_base_PKT3_PKiS6_iS1_PS2_S6_PiNS_24const_host_device_scalarIS2_EEb
    .private_segment_fixed_size: 0
    .sgpr_count:     18
    .sgpr_spill_count: 0
    .symbol:         _ZN9rocsparseL23csr2csr_compress_kernelILi1024ELi512ELi2ELi64EdEEvii21rocsparse_index_base_PKT3_PKiS6_iS1_PS2_S6_PiNS_24const_host_device_scalarIS2_EEb.kd
    .uniform_work_group_size: 1
    .uses_dynamic_stack: false
    .vgpr_count:     15
    .vgpr_spill_count: 0
    .wavefront_size: 32
    .workgroup_processor_mode: 1
  - .args:
      - .offset:         0
        .size:           4
        .value_kind:     by_value
      - .offset:         4
        .size:           4
        .value_kind:     by_value
      - .offset:         8
        .size:           4
        .value_kind:     by_value
      - .actual_access:  read_only
        .address_space:  global
        .offset:         16
        .size:           8
        .value_kind:     global_buffer
      - .actual_access:  read_only
        .address_space:  global
        .offset:         24
        .size:           8
        .value_kind:     global_buffer
      - .actual_access:  read_only
        .address_space:  global
        .offset:         32
        .size:           8
        .value_kind:     global_buffer
      - .offset:         40
        .size:           4
        .value_kind:     by_value
      - .offset:         44
        .size:           4
        .value_kind:     by_value
      - .actual_access:  write_only
        .address_space:  global
        .offset:         48
        .size:           8
        .value_kind:     global_buffer
      - .actual_access:  read_only
        .address_space:  global
        .offset:         56
        .size:           8
        .value_kind:     global_buffer
      - .actual_access:  write_only
        .address_space:  global
        .offset:         64
        .size:           8
        .value_kind:     global_buffer
      - .offset:         72
        .size:           8
        .value_kind:     by_value
      - .offset:         80
        .size:           1
        .value_kind:     by_value
    .group_segment_fixed_size: 0
    .kernarg_segment_align: 8
    .kernarg_segment_size: 84
    .language:       OpenCL C
    .language_version:
      - 2
      - 0
    .max_flat_workgroup_size: 1024
    .name:           _ZN9rocsparseL23csr2csr_compress_kernelILi1024ELi256ELi4ELi64EdEEvii21rocsparse_index_base_PKT3_PKiS6_iS1_PS2_S6_PiNS_24const_host_device_scalarIS2_EEb
    .private_segment_fixed_size: 0
    .sgpr_count:     18
    .sgpr_spill_count: 0
    .symbol:         _ZN9rocsparseL23csr2csr_compress_kernelILi1024ELi256ELi4ELi64EdEEvii21rocsparse_index_base_PKT3_PKiS6_iS1_PS2_S6_PiNS_24const_host_device_scalarIS2_EEb.kd
    .uniform_work_group_size: 1
    .uses_dynamic_stack: false
    .vgpr_count:     15
    .vgpr_spill_count: 0
    .wavefront_size: 32
    .workgroup_processor_mode: 1
  - .args:
      - .offset:         0
        .size:           4
        .value_kind:     by_value
      - .offset:         4
        .size:           4
        .value_kind:     by_value
      - .offset:         8
        .size:           4
        .value_kind:     by_value
      - .actual_access:  read_only
        .address_space:  global
        .offset:         16
        .size:           8
        .value_kind:     global_buffer
      - .actual_access:  read_only
        .address_space:  global
        .offset:         24
        .size:           8
        .value_kind:     global_buffer
      - .actual_access:  read_only
        .address_space:  global
        .offset:         32
        .size:           8
        .value_kind:     global_buffer
      - .offset:         40
        .size:           4
        .value_kind:     by_value
      - .offset:         44
        .size:           4
        .value_kind:     by_value
      - .actual_access:  write_only
        .address_space:  global
        .offset:         48
        .size:           8
        .value_kind:     global_buffer
      - .actual_access:  read_only
        .address_space:  global
        .offset:         56
        .size:           8
        .value_kind:     global_buffer
      - .actual_access:  write_only
        .address_space:  global
        .offset:         64
        .size:           8
        .value_kind:     global_buffer
      - .offset:         72
        .size:           8
        .value_kind:     by_value
      - .offset:         80
        .size:           1
        .value_kind:     by_value
    .group_segment_fixed_size: 0
    .kernarg_segment_align: 8
    .kernarg_segment_size: 84
    .language:       OpenCL C
    .language_version:
      - 2
      - 0
    .max_flat_workgroup_size: 1024
    .name:           _ZN9rocsparseL23csr2csr_compress_kernelILi1024ELi128ELi8ELi64EdEEvii21rocsparse_index_base_PKT3_PKiS6_iS1_PS2_S6_PiNS_24const_host_device_scalarIS2_EEb
    .private_segment_fixed_size: 0
    .sgpr_count:     18
    .sgpr_spill_count: 0
    .symbol:         _ZN9rocsparseL23csr2csr_compress_kernelILi1024ELi128ELi8ELi64EdEEvii21rocsparse_index_base_PKT3_PKiS6_iS1_PS2_S6_PiNS_24const_host_device_scalarIS2_EEb.kd
    .uniform_work_group_size: 1
    .uses_dynamic_stack: false
    .vgpr_count:     15
    .vgpr_spill_count: 0
    .wavefront_size: 32
    .workgroup_processor_mode: 1
  - .args:
      - .offset:         0
        .size:           4
        .value_kind:     by_value
      - .offset:         4
        .size:           4
        .value_kind:     by_value
      - .offset:         8
        .size:           4
        .value_kind:     by_value
      - .actual_access:  read_only
        .address_space:  global
        .offset:         16
        .size:           8
        .value_kind:     global_buffer
      - .actual_access:  read_only
        .address_space:  global
        .offset:         24
        .size:           8
        .value_kind:     global_buffer
      - .actual_access:  read_only
        .address_space:  global
        .offset:         32
        .size:           8
        .value_kind:     global_buffer
      - .offset:         40
        .size:           4
        .value_kind:     by_value
      - .offset:         44
        .size:           4
        .value_kind:     by_value
      - .actual_access:  write_only
        .address_space:  global
        .offset:         48
        .size:           8
        .value_kind:     global_buffer
      - .actual_access:  read_only
        .address_space:  global
        .offset:         56
        .size:           8
        .value_kind:     global_buffer
      - .actual_access:  write_only
        .address_space:  global
        .offset:         64
        .size:           8
        .value_kind:     global_buffer
      - .offset:         72
        .size:           8
        .value_kind:     by_value
      - .offset:         80
        .size:           1
        .value_kind:     by_value
    .group_segment_fixed_size: 0
    .kernarg_segment_align: 8
    .kernarg_segment_size: 84
    .language:       OpenCL C
    .language_version:
      - 2
      - 0
    .max_flat_workgroup_size: 1024
    .name:           _ZN9rocsparseL23csr2csr_compress_kernelILi1024ELi64ELi16ELi64EdEEvii21rocsparse_index_base_PKT3_PKiS6_iS1_PS2_S6_PiNS_24const_host_device_scalarIS2_EEb
    .private_segment_fixed_size: 0
    .sgpr_count:     18
    .sgpr_spill_count: 0
    .symbol:         _ZN9rocsparseL23csr2csr_compress_kernelILi1024ELi64ELi16ELi64EdEEvii21rocsparse_index_base_PKT3_PKiS6_iS1_PS2_S6_PiNS_24const_host_device_scalarIS2_EEb.kd
    .uniform_work_group_size: 1
    .uses_dynamic_stack: false
    .vgpr_count:     15
    .vgpr_spill_count: 0
    .wavefront_size: 32
    .workgroup_processor_mode: 1
  - .args:
      - .offset:         0
        .size:           4
        .value_kind:     by_value
      - .offset:         4
        .size:           4
        .value_kind:     by_value
      - .offset:         8
        .size:           4
        .value_kind:     by_value
      - .actual_access:  read_only
        .address_space:  global
        .offset:         16
        .size:           8
        .value_kind:     global_buffer
      - .actual_access:  read_only
        .address_space:  global
        .offset:         24
        .size:           8
        .value_kind:     global_buffer
      - .actual_access:  read_only
        .address_space:  global
        .offset:         32
        .size:           8
        .value_kind:     global_buffer
      - .offset:         40
        .size:           4
        .value_kind:     by_value
      - .offset:         44
        .size:           4
        .value_kind:     by_value
      - .actual_access:  write_only
        .address_space:  global
        .offset:         48
        .size:           8
        .value_kind:     global_buffer
      - .actual_access:  read_only
        .address_space:  global
        .offset:         56
        .size:           8
        .value_kind:     global_buffer
      - .actual_access:  write_only
        .address_space:  global
        .offset:         64
        .size:           8
        .value_kind:     global_buffer
      - .offset:         72
        .size:           8
        .value_kind:     by_value
      - .offset:         80
        .size:           1
        .value_kind:     by_value
    .group_segment_fixed_size: 0
    .kernarg_segment_align: 8
    .kernarg_segment_size: 84
    .language:       OpenCL C
    .language_version:
      - 2
      - 0
    .max_flat_workgroup_size: 1024
    .name:           _ZN9rocsparseL23csr2csr_compress_kernelILi1024ELi32ELi32ELi64EdEEvii21rocsparse_index_base_PKT3_PKiS6_iS1_PS2_S6_PiNS_24const_host_device_scalarIS2_EEb
    .private_segment_fixed_size: 0
    .sgpr_count:     18
    .sgpr_spill_count: 0
    .symbol:         _ZN9rocsparseL23csr2csr_compress_kernelILi1024ELi32ELi32ELi64EdEEvii21rocsparse_index_base_PKT3_PKiS6_iS1_PS2_S6_PiNS_24const_host_device_scalarIS2_EEb.kd
    .uniform_work_group_size: 1
    .uses_dynamic_stack: false
    .vgpr_count:     15
    .vgpr_spill_count: 0
    .wavefront_size: 32
    .workgroup_processor_mode: 1
  - .args:
      - .offset:         0
        .size:           4
        .value_kind:     by_value
      - .offset:         4
        .size:           4
        .value_kind:     by_value
      - .offset:         8
        .size:           4
        .value_kind:     by_value
      - .actual_access:  read_only
        .address_space:  global
        .offset:         16
        .size:           8
        .value_kind:     global_buffer
      - .actual_access:  read_only
        .address_space:  global
        .offset:         24
        .size:           8
        .value_kind:     global_buffer
      - .actual_access:  read_only
        .address_space:  global
        .offset:         32
        .size:           8
        .value_kind:     global_buffer
      - .offset:         40
        .size:           4
        .value_kind:     by_value
      - .offset:         44
        .size:           4
        .value_kind:     by_value
      - .actual_access:  write_only
        .address_space:  global
        .offset:         48
        .size:           8
        .value_kind:     global_buffer
      - .actual_access:  read_only
        .address_space:  global
        .offset:         56
        .size:           8
        .value_kind:     global_buffer
      - .actual_access:  write_only
        .address_space:  global
        .offset:         64
        .size:           8
        .value_kind:     global_buffer
      - .offset:         72
        .size:           8
        .value_kind:     by_value
      - .offset:         80
        .size:           1
        .value_kind:     by_value
    .group_segment_fixed_size: 0
    .kernarg_segment_align: 8
    .kernarg_segment_size: 84
    .language:       OpenCL C
    .language_version:
      - 2
      - 0
    .max_flat_workgroup_size: 1024
    .name:           _ZN9rocsparseL23csr2csr_compress_kernelILi1024ELi16ELi64ELi64EdEEvii21rocsparse_index_base_PKT3_PKiS6_iS1_PS2_S6_PiNS_24const_host_device_scalarIS2_EEb
    .private_segment_fixed_size: 0
    .sgpr_count:     18
    .sgpr_spill_count: 0
    .symbol:         _ZN9rocsparseL23csr2csr_compress_kernelILi1024ELi16ELi64ELi64EdEEvii21rocsparse_index_base_PKT3_PKiS6_iS1_PS2_S6_PiNS_24const_host_device_scalarIS2_EEb.kd
    .uniform_work_group_size: 1
    .uses_dynamic_stack: false
    .vgpr_count:     15
    .vgpr_spill_count: 0
    .wavefront_size: 32
    .workgroup_processor_mode: 1
amdhsa.target:   amdgcn-amd-amdhsa--gfx1100
amdhsa.version:
  - 1
  - 2
...

	.end_amdgpu_metadata
